;; amdgpu-corpus repo=ROCm/rocFFT kind=compiled arch=gfx950 opt=O3
	.text
	.amdgcn_target "amdgcn-amd-amdhsa--gfx950"
	.amdhsa_code_object_version 6
	.protected	fft_rtc_fwd_len1690_factors_13_10_13_wgs_169_tpt_169_dp_op_CI_CI_unitstride_sbrr_C2R_dirReg ; -- Begin function fft_rtc_fwd_len1690_factors_13_10_13_wgs_169_tpt_169_dp_op_CI_CI_unitstride_sbrr_C2R_dirReg
	.globl	fft_rtc_fwd_len1690_factors_13_10_13_wgs_169_tpt_169_dp_op_CI_CI_unitstride_sbrr_C2R_dirReg
	.p2align	8
	.type	fft_rtc_fwd_len1690_factors_13_10_13_wgs_169_tpt_169_dp_op_CI_CI_unitstride_sbrr_C2R_dirReg,@function
fft_rtc_fwd_len1690_factors_13_10_13_wgs_169_tpt_169_dp_op_CI_CI_unitstride_sbrr_C2R_dirReg: ; @fft_rtc_fwd_len1690_factors_13_10_13_wgs_169_tpt_169_dp_op_CI_CI_unitstride_sbrr_C2R_dirReg
; %bb.0:
	s_load_dwordx4 s[4:7], s[0:1], 0x58
	s_load_dwordx4 s[8:11], s[0:1], 0x0
	;; [unrolled: 1-line block ×3, first 2 shown]
	v_mul_u32_u24_e32 v1, 0x184, v0
	v_add_u32_sdwa v6, s2, v1 dst_sel:DWORD dst_unused:UNUSED_PAD src0_sel:DWORD src1_sel:WORD_1
	v_mov_b32_e32 v4, 0
	s_waitcnt lgkmcnt(0)
	v_cmp_lt_u64_e64 s[2:3], s[10:11], 2
	v_mov_b32_e32 v7, v4
	s_and_b64 vcc, exec, s[2:3]
	v_mov_b64_e32 v[2:3], 0
	s_cbranch_vccnz .LBB0_8
; %bb.1:
	s_load_dwordx2 s[2:3], s[0:1], 0x10
	s_add_u32 s16, s14, 8
	s_addc_u32 s17, s15, 0
	s_add_u32 s18, s12, 8
	s_addc_u32 s19, s13, 0
	s_waitcnt lgkmcnt(0)
	s_add_u32 s20, s2, 8
	v_mov_b64_e32 v[2:3], 0
	s_addc_u32 s21, s3, 0
	s_mov_b64 s[22:23], 1
	v_mov_b64_e32 v[80:81], v[2:3]
.LBB0_2:                                ; =>This Inner Loop Header: Depth=1
	s_load_dwordx2 s[24:25], s[20:21], 0x0
                                        ; implicit-def: $vgpr82_vgpr83
	s_waitcnt lgkmcnt(0)
	v_or_b32_e32 v5, s25, v7
	v_cmp_ne_u64_e32 vcc, 0, v[4:5]
	s_and_saveexec_b64 s[2:3], vcc
	s_xor_b64 s[26:27], exec, s[2:3]
	s_cbranch_execz .LBB0_4
; %bb.3:                                ;   in Loop: Header=BB0_2 Depth=1
	v_cvt_f32_u32_e32 v1, s24
	v_cvt_f32_u32_e32 v5, s25
	s_sub_u32 s2, 0, s24
	s_subb_u32 s3, 0, s25
	v_fmac_f32_e32 v1, 0x4f800000, v5
	v_rcp_f32_e32 v1, v1
	s_nop 0
	v_mul_f32_e32 v1, 0x5f7ffffc, v1
	v_mul_f32_e32 v5, 0x2f800000, v1
	v_trunc_f32_e32 v5, v5
	v_fmac_f32_e32 v1, 0xcf800000, v5
	v_cvt_u32_f32_e32 v5, v5
	v_cvt_u32_f32_e32 v1, v1
	v_mul_lo_u32 v8, s2, v5
	v_mul_hi_u32 v10, s2, v1
	v_mul_lo_u32 v9, s3, v1
	v_add_u32_e32 v10, v10, v8
	v_mul_lo_u32 v12, s2, v1
	v_add_u32_e32 v13, v10, v9
	v_mul_hi_u32 v8, v1, v12
	v_mul_hi_u32 v11, v1, v13
	v_mul_lo_u32 v10, v1, v13
	v_mov_b32_e32 v9, v4
	v_lshl_add_u64 v[8:9], v[8:9], 0, v[10:11]
	v_mul_hi_u32 v11, v5, v12
	v_mul_lo_u32 v12, v5, v12
	v_add_co_u32_e32 v8, vcc, v8, v12
	v_mul_hi_u32 v10, v5, v13
	s_nop 0
	v_addc_co_u32_e32 v8, vcc, v9, v11, vcc
	v_mov_b32_e32 v9, v4
	s_nop 0
	v_addc_co_u32_e32 v11, vcc, 0, v10, vcc
	v_mul_lo_u32 v10, v5, v13
	v_lshl_add_u64 v[8:9], v[8:9], 0, v[10:11]
	v_add_co_u32_e32 v1, vcc, v1, v8
	v_mul_lo_u32 v10, s2, v1
	s_nop 0
	v_addc_co_u32_e32 v5, vcc, v5, v9, vcc
	v_mul_lo_u32 v8, s2, v5
	v_mul_hi_u32 v9, s2, v1
	v_add_u32_e32 v8, v9, v8
	v_mul_lo_u32 v9, s3, v1
	v_add_u32_e32 v12, v8, v9
	v_mul_hi_u32 v14, v5, v10
	v_mul_lo_u32 v15, v5, v10
	v_mul_hi_u32 v9, v1, v12
	v_mul_lo_u32 v8, v1, v12
	v_mul_hi_u32 v10, v1, v10
	v_mov_b32_e32 v11, v4
	v_lshl_add_u64 v[8:9], v[10:11], 0, v[8:9]
	v_add_co_u32_e32 v8, vcc, v8, v15
	v_mul_hi_u32 v13, v5, v12
	s_nop 0
	v_addc_co_u32_e32 v8, vcc, v9, v14, vcc
	v_mul_lo_u32 v10, v5, v12
	s_nop 0
	v_addc_co_u32_e32 v11, vcc, 0, v13, vcc
	v_mov_b32_e32 v9, v4
	v_lshl_add_u64 v[8:9], v[8:9], 0, v[10:11]
	v_add_co_u32_e32 v1, vcc, v1, v8
	v_mul_hi_u32 v10, v6, v1
	s_nop 0
	v_addc_co_u32_e32 v5, vcc, v5, v9, vcc
	v_mad_u64_u32 v[8:9], s[2:3], v6, v5, 0
	v_mov_b32_e32 v11, v4
	v_lshl_add_u64 v[8:9], v[10:11], 0, v[8:9]
	v_mad_u64_u32 v[12:13], s[2:3], v7, v1, 0
	v_add_co_u32_e32 v1, vcc, v8, v12
	v_mad_u64_u32 v[10:11], s[2:3], v7, v5, 0
	s_nop 0
	v_addc_co_u32_e32 v8, vcc, v9, v13, vcc
	v_mov_b32_e32 v9, v4
	s_nop 0
	v_addc_co_u32_e32 v11, vcc, 0, v11, vcc
	v_lshl_add_u64 v[8:9], v[8:9], 0, v[10:11]
	v_mul_lo_u32 v1, s25, v8
	v_mul_lo_u32 v5, s24, v9
	v_mad_u64_u32 v[10:11], s[2:3], s24, v8, 0
	v_add3_u32 v1, v11, v5, v1
	v_sub_u32_e32 v5, v7, v1
	v_mov_b32_e32 v11, s25
	v_sub_co_u32_e32 v14, vcc, v6, v10
	v_lshl_add_u64 v[12:13], v[8:9], 0, 1
	s_nop 0
	v_subb_co_u32_e64 v5, s[2:3], v5, v11, vcc
	v_subrev_co_u32_e64 v10, s[2:3], s24, v14
	v_subb_co_u32_e32 v1, vcc, v7, v1, vcc
	s_nop 0
	v_subbrev_co_u32_e64 v5, s[2:3], 0, v5, s[2:3]
	v_cmp_le_u32_e64 s[2:3], s25, v5
	v_cmp_le_u32_e32 vcc, s25, v1
	s_nop 0
	v_cndmask_b32_e64 v11, 0, -1, s[2:3]
	v_cmp_le_u32_e64 s[2:3], s24, v10
	s_nop 1
	v_cndmask_b32_e64 v10, 0, -1, s[2:3]
	v_cmp_eq_u32_e64 s[2:3], s25, v5
	s_nop 1
	v_cndmask_b32_e64 v5, v11, v10, s[2:3]
	v_lshl_add_u64 v[10:11], v[8:9], 0, 2
	v_cmp_ne_u32_e64 s[2:3], 0, v5
	s_nop 1
	v_cndmask_b32_e64 v5, v13, v11, s[2:3]
	v_cndmask_b32_e64 v11, 0, -1, vcc
	v_cmp_le_u32_e32 vcc, s24, v14
	s_nop 1
	v_cndmask_b32_e64 v13, 0, -1, vcc
	v_cmp_eq_u32_e32 vcc, s25, v1
	s_nop 1
	v_cndmask_b32_e32 v1, v11, v13, vcc
	v_cmp_ne_u32_e32 vcc, 0, v1
	v_cndmask_b32_e64 v1, v12, v10, s[2:3]
	s_nop 0
	v_cndmask_b32_e32 v83, v9, v5, vcc
	v_cndmask_b32_e32 v82, v8, v1, vcc
.LBB0_4:                                ;   in Loop: Header=BB0_2 Depth=1
	s_andn2_saveexec_b64 s[2:3], s[26:27]
	s_cbranch_execz .LBB0_6
; %bb.5:                                ;   in Loop: Header=BB0_2 Depth=1
	v_cvt_f32_u32_e32 v1, s24
	s_sub_i32 s26, 0, s24
	v_mov_b32_e32 v83, v4
	v_rcp_iflag_f32_e32 v1, v1
	s_nop 0
	v_mul_f32_e32 v1, 0x4f7ffffe, v1
	v_cvt_u32_f32_e32 v1, v1
	v_mul_lo_u32 v5, s26, v1
	v_mul_hi_u32 v5, v1, v5
	v_add_u32_e32 v1, v1, v5
	v_mul_hi_u32 v1, v6, v1
	v_mul_lo_u32 v5, v1, s24
	v_sub_u32_e32 v5, v6, v5
	v_add_u32_e32 v8, 1, v1
	v_subrev_u32_e32 v9, s24, v5
	v_cmp_le_u32_e32 vcc, s24, v5
	s_nop 1
	v_cndmask_b32_e32 v5, v5, v9, vcc
	v_cndmask_b32_e32 v1, v1, v8, vcc
	v_add_u32_e32 v8, 1, v1
	v_cmp_le_u32_e32 vcc, s24, v5
	s_nop 1
	v_cndmask_b32_e32 v82, v1, v8, vcc
.LBB0_6:                                ;   in Loop: Header=BB0_2 Depth=1
	s_or_b64 exec, exec, s[2:3]
	v_mad_u64_u32 v[8:9], s[2:3], v82, s24, 0
	s_load_dwordx2 s[2:3], s[18:19], 0x0
	v_mul_lo_u32 v1, v83, s24
	v_mul_lo_u32 v5, v82, s25
	s_load_dwordx2 s[24:25], s[16:17], 0x0
	s_add_u32 s22, s22, 1
	v_add3_u32 v1, v9, v5, v1
	v_sub_co_u32_e32 v5, vcc, v6, v8
	s_addc_u32 s23, s23, 0
	s_nop 0
	v_subb_co_u32_e32 v1, vcc, v7, v1, vcc
	s_add_u32 s16, s16, 8
	s_waitcnt lgkmcnt(0)
	v_mul_lo_u32 v6, s2, v1
	v_mul_lo_u32 v7, s3, v5
	v_mad_u64_u32 v[2:3], s[2:3], s2, v5, v[2:3]
	s_addc_u32 s17, s17, 0
	v_add3_u32 v3, v7, v3, v6
	v_mul_lo_u32 v1, s24, v1
	v_mul_lo_u32 v6, s25, v5
	v_mad_u64_u32 v[80:81], s[2:3], s24, v5, v[80:81]
	s_add_u32 s18, s18, 8
	v_add3_u32 v81, v6, v81, v1
	s_addc_u32 s19, s19, 0
	v_mov_b64_e32 v[6:7], s[10:11]
	s_add_u32 s20, s20, 8
	v_cmp_ge_u64_e32 vcc, s[22:23], v[6:7]
	s_addc_u32 s21, s21, 0
	s_cbranch_vccnz .LBB0_9
; %bb.7:                                ;   in Loop: Header=BB0_2 Depth=1
	v_mov_b64_e32 v[6:7], v[82:83]
	s_branch .LBB0_2
.LBB0_8:
	v_mov_b64_e32 v[80:81], v[2:3]
	v_mov_b64_e32 v[82:83], v[6:7]
.LBB0_9:
	s_load_dwordx2 s[18:19], s[0:1], 0x28
	s_lshl_b64 s[16:17], s[10:11], 3
	s_add_u32 s2, s14, s16
	s_addc_u32 s3, s15, s17
                                        ; implicit-def: $vgpr84
	s_waitcnt lgkmcnt(0)
	v_cmp_gt_u64_e64 s[0:1], s[18:19], v[82:83]
	v_cmp_le_u64_e32 vcc, s[18:19], v[82:83]
	s_and_saveexec_b64 s[10:11], vcc
	s_xor_b64 s[10:11], exec, s[10:11]
; %bb.10:
	s_mov_b32 s14, 0x183c978
	v_mul_hi_u32 v1, v0, s14
	v_mul_u32_u24_e32 v1, 0xa9, v1
	v_sub_u32_e32 v84, v0, v1
                                        ; implicit-def: $vgpr0
                                        ; implicit-def: $vgpr2_vgpr3
; %bb.11:
	s_or_saveexec_b64 s[10:11], s[10:11]
	s_load_dwordx2 s[2:3], s[2:3], 0x0
	s_xor_b64 exec, exec, s[10:11]
	s_cbranch_execz .LBB0_15
; %bb.12:
	s_add_u32 s12, s12, s16
	s_addc_u32 s13, s13, s17
	s_load_dwordx2 s[12:13], s[12:13], 0x0
	s_mov_b32 s14, 0x183c978
	s_waitcnt lgkmcnt(0)
	v_mul_lo_u32 v1, s13, v82
	v_mul_lo_u32 v6, s12, v83
	v_mad_u64_u32 v[4:5], s[12:13], s12, v82, 0
	v_add3_u32 v5, v5, v6, v1
	v_mul_hi_u32 v1, v0, s14
	v_mul_u32_u24_e32 v1, 0xa9, v1
	v_sub_u32_e32 v84, v0, v1
	v_lshl_add_u64 v[0:1], v[4:5], 4, s[4:5]
	v_lshl_add_u64 v[2:3], v[2:3], 4, v[0:1]
	v_lshlrev_b32_e32 v0, 4, v84
	v_mov_b32_e32 v1, 0
	v_lshl_add_u64 v[36:37], v[2:3], 0, v[0:1]
	s_movk_i32 s4, 0x1000
	v_add_co_u32_e32 v20, vcc, s4, v36
	s_movk_i32 s4, 0x2000
	s_nop 0
	v_addc_co_u32_e32 v21, vcc, 0, v37, vcc
	v_add_co_u32_e32 v28, vcc, s4, v36
	s_movk_i32 s4, 0x3000
	s_nop 0
	v_addc_co_u32_e32 v29, vcc, 0, v37, vcc
	;; [unrolled: 4-line block ×3, first 2 shown]
	v_add_co_u32_e32 v40, vcc, s4, v36
	global_load_dwordx4 v[4:7], v[36:37], off
	global_load_dwordx4 v[8:11], v[36:37], off offset:2704
	v_addc_co_u32_e32 v41, vcc, 0, v37, vcc
	v_add_co_u32_e32 v44, vcc, 0x5000, v36
	global_load_dwordx4 v[12:15], v[20:21], off offset:1312
	global_load_dwordx4 v[16:19], v[20:21], off offset:4016
	v_addc_co_u32_e32 v45, vcc, 0, v37, vcc
	global_load_dwordx4 v[20:23], v[28:29], off offset:2624
	global_load_dwordx4 v[24:27], v[38:39], off offset:1232
	s_nop 0
	global_load_dwordx4 v[28:31], v[38:39], off offset:3936
	global_load_dwordx4 v[32:35], v[40:41], off offset:2544
	s_nop 0
	global_load_dwordx4 v[36:39], v[44:45], off offset:1152
	global_load_dwordx4 v[40:43], v[44:45], off offset:3856
	s_movk_i32 s4, 0xa8
	v_add_u32_e32 v0, 0, v0
	v_cmp_eq_u32_e32 vcc, s4, v84
	s_waitcnt vmcnt(9)
	ds_write_b128 v0, v[4:7]
	s_waitcnt vmcnt(8)
	ds_write_b128 v0, v[8:11] offset:2704
	s_waitcnt vmcnt(7)
	ds_write_b128 v0, v[12:15] offset:5408
	;; [unrolled: 2-line block ×9, first 2 shown]
	s_and_saveexec_b64 s[4:5], vcc
	s_cbranch_execz .LBB0_14
; %bb.13:
	v_add_co_u32_e32 v2, vcc, 0x6000, v2
	v_mov_b32_e32 v84, 0xa8
	s_nop 0
	v_addc_co_u32_e32 v3, vcc, 0, v3, vcc
	global_load_dwordx4 v[2:5], v[2:3], off offset:2464
	s_waitcnt vmcnt(0)
	ds_write_b128 v1, v[2:5] offset:27040
.LBB0_14:
	s_or_b64 exec, exec, s[4:5]
.LBB0_15:
	s_or_b64 exec, exec, s[10:11]
	v_lshlrev_b32_e32 v0, 4, v84
	v_add_u32_e32 v230, 0, v0
	s_waitcnt lgkmcnt(0)
	s_barrier
	v_sub_u32_e32 v12, 0, v0
	ds_read_b64 v[6:7], v230
	ds_read_b64 v[8:9], v12 offset:27040
	s_add_u32 s4, s8, 0x68d0
	s_addc_u32 s5, s9, 0
	v_cmp_ne_u32_e32 vcc, 0, v84
                                        ; implicit-def: $vgpr4_vgpr5
	s_waitcnt lgkmcnt(0)
	v_add_f64 v[0:1], v[6:7], v[8:9]
	v_add_f64 v[2:3], v[6:7], -v[8:9]
	s_and_saveexec_b64 s[10:11], vcc
	s_xor_b64 s[10:11], exec, s[10:11]
	s_cbranch_execz .LBB0_17
; %bb.16:
	v_mov_b32_e32 v85, 0
	v_lshl_add_u64 v[0:1], v[84:85], 4, s[4:5]
	global_load_dwordx4 v[14:17], v[0:1], off
	ds_read_b64 v[0:1], v12 offset:27048
	ds_read_b64 v[2:3], v230 offset:8
	v_add_f64 v[4:5], v[6:7], v[8:9]
	v_add_f64 v[8:9], v[6:7], -v[8:9]
	s_waitcnt lgkmcnt(0)
	v_add_f64 v[10:11], v[0:1], v[2:3]
	v_add_f64 v[0:1], v[2:3], -v[0:1]
	s_waitcnt vmcnt(0)
	v_fma_f64 v[18:19], v[8:9], v[16:17], v[4:5]
	v_fma_f64 v[4:5], -v[8:9], v[16:17], v[4:5]
	v_fma_f64 v[6:7], v[10:11], v[16:17], -v[0:1]
	v_fma_f64 v[2:3], v[10:11], v[16:17], v[0:1]
	v_fmac_f64_e32 v[4:5], v[10:11], v[14:15]
	v_fmac_f64_e32 v[6:7], v[8:9], v[14:15]
	v_fma_f64 v[0:1], -v[10:11], v[14:15], v[18:19]
	v_fmac_f64_e32 v[2:3], v[8:9], v[14:15]
	ds_write_b128 v12, v[4:7] offset:27040
	v_mov_b64_e32 v[4:5], v[84:85]
.LBB0_17:
	s_andn2_saveexec_b64 s[10:11], s[10:11]
	s_cbranch_execz .LBB0_19
; %bb.18:
	v_mov_b32_e32 v8, 0
	ds_read_b128 v[4:7], v8 offset:13520
	s_waitcnt lgkmcnt(0)
	v_add_f64 v[4:5], v[4:5], v[4:5]
	v_mul_f64 v[6:7], v[6:7], -2.0
	ds_write_b128 v8, v[4:7] offset:13520
	v_mov_b64_e32 v[4:5], 0
.LBB0_19:
	s_or_b64 exec, exec, s[10:11]
	v_lshl_add_u64 v[8:9], v[4:5], 4, s[4:5]
	global_load_dwordx4 v[14:17], v[8:9], off offset:2704
	s_movk_i32 s4, 0x1000
	v_add_co_u32_e32 v10, vcc, s4, v8
	s_movk_i32 s4, 0x2000
	s_nop 0
	v_addc_co_u32_e32 v11, vcc, 0, v9, vcc
	global_load_dwordx4 v[18:21], v[10:11], off offset:1312
	global_load_dwordx4 v[4:7], v[10:11], off offset:4016
	v_add_co_u32_e32 v8, vcc, s4, v8
	ds_write_b128 v230, v[0:3]
	s_nop 0
	v_addc_co_u32_e32 v9, vcc, 0, v9, vcc
	global_load_dwordx4 v[8:11], v[8:9], off offset:2624
	ds_read_b128 v[0:3], v230 offset:2704
	ds_read_b128 v[22:25], v12 offset:24336
	s_mov_b32 s12, 0x4267c47c
	s_mov_b32 s4, 0xe00740e9
	;; [unrolled: 1-line block ×4, first 2 shown]
	s_waitcnt lgkmcnt(0)
	v_add_f64 v[26:27], v[0:1], v[22:23]
	v_add_f64 v[28:29], v[24:25], v[2:3]
	v_add_f64 v[30:31], v[0:1], -v[22:23]
	v_add_f64 v[0:1], v[2:3], -v[24:25]
	s_mov_b32 s5, 0x3fec55a7
	s_mov_b32 s10, 0x1ea71119
	;; [unrolled: 1-line block ×28, first 2 shown]
	s_movk_i32 s22, 0x82
	v_cmp_gt_u32_e32 vcc, s22, v84
	s_waitcnt vmcnt(3)
	v_fma_f64 v[32:33], v[30:31], v[16:17], v[26:27]
	v_fma_f64 v[2:3], v[28:29], v[16:17], v[0:1]
	v_fma_f64 v[22:23], -v[30:31], v[16:17], v[26:27]
	v_fma_f64 v[24:25], v[28:29], v[16:17], -v[0:1]
	v_fma_f64 v[0:1], -v[28:29], v[14:15], v[32:33]
	v_fmac_f64_e32 v[2:3], v[30:31], v[14:15]
	v_fmac_f64_e32 v[22:23], v[28:29], v[14:15]
	v_fmac_f64_e32 v[24:25], v[30:31], v[14:15]
	ds_write_b128 v230, v[0:3] offset:2704
	ds_write_b128 v12, v[22:25] offset:24336
	ds_read_b128 v[0:3], v230 offset:5408
	ds_read_b128 v[14:17], v12 offset:21632
	s_waitcnt lgkmcnt(0)
	v_add_f64 v[22:23], v[0:1], v[14:15]
	v_add_f64 v[24:25], v[16:17], v[2:3]
	v_add_f64 v[26:27], v[0:1], -v[14:15]
	v_add_f64 v[0:1], v[2:3], -v[16:17]
	s_waitcnt vmcnt(2)
	v_fma_f64 v[28:29], v[26:27], v[20:21], v[22:23]
	v_fma_f64 v[2:3], v[24:25], v[20:21], v[0:1]
	v_fma_f64 v[14:15], -v[26:27], v[20:21], v[22:23]
	v_fma_f64 v[16:17], v[24:25], v[20:21], -v[0:1]
	v_fma_f64 v[0:1], -v[24:25], v[18:19], v[28:29]
	v_fmac_f64_e32 v[2:3], v[26:27], v[18:19]
	v_fmac_f64_e32 v[14:15], v[24:25], v[18:19]
	v_fmac_f64_e32 v[16:17], v[26:27], v[18:19]
	ds_write_b128 v230, v[0:3] offset:5408
	ds_write_b128 v12, v[14:17] offset:21632
	ds_read_b128 v[0:3], v230 offset:8112
	ds_read_b128 v[14:17], v12 offset:18928
	s_waitcnt lgkmcnt(0)
	v_add_f64 v[18:19], v[0:1], v[14:15]
	v_add_f64 v[20:21], v[16:17], v[2:3]
	v_add_f64 v[22:23], v[0:1], -v[14:15]
	v_add_f64 v[0:1], v[2:3], -v[16:17]
	;; [unrolled: 18-line block ×3, first 2 shown]
	s_waitcnt vmcnt(0)
	v_fma_f64 v[20:21], v[18:19], v[10:11], v[14:15]
	v_fma_f64 v[2:3], v[16:17], v[10:11], v[0:1]
	v_fma_f64 v[4:5], -v[18:19], v[10:11], v[14:15]
	v_fma_f64 v[6:7], v[16:17], v[10:11], -v[0:1]
	v_fma_f64 v[0:1], -v[16:17], v[8:9], v[20:21]
	v_fmac_f64_e32 v[2:3], v[18:19], v[8:9]
	v_fmac_f64_e32 v[4:5], v[16:17], v[8:9]
	;; [unrolled: 1-line block ×3, first 2 shown]
	ds_write_b128 v230, v[0:3] offset:10816
	ds_write_b128 v12, v[4:7] offset:16224
	s_waitcnt lgkmcnt(0)
	s_barrier
	s_barrier
	ds_read_b128 v[12:15], v230 offset:24960
	ds_read_b128 v[20:23], v230 offset:2080
	ds_read_b128 v[24:27], v230
	ds_read_b128 v[28:31], v230 offset:4160
	ds_read_b128 v[32:35], v230 offset:6240
	;; [unrolled: 1-line block ×6, first 2 shown]
	s_waitcnt lgkmcnt(7)
	v_add_f64 v[110:111], v[22:23], -v[14:15]
	v_add_f64 v[98:99], v[20:21], v[12:13]
	v_add_f64 v[102:103], v[20:21], -v[12:13]
	s_waitcnt lgkmcnt(3)
	v_add_f64 v[112:113], v[30:31], -v[18:19]
	v_mul_f64 v[174:175], v[110:111], s[12:13]
	ds_read_b128 v[48:51], v230 offset:10400
	ds_read_b128 v[52:55], v230 offset:16640
	v_add_f64 v[118:119], v[22:23], v[14:15]
	v_add_f64 v[100:101], v[28:29], v[16:17]
	v_add_f64 v[104:105], v[28:29], -v[16:17]
	v_mul_f64 v[90:91], v[102:103], s[12:13]
	v_mul_f64 v[88:89], v[112:113], s[14:15]
	v_fma_f64 v[0:1], s[4:5], v[98:99], v[174:175]
	s_waitcnt lgkmcnt(4)
	v_add_f64 v[130:131], v[34:35], -v[38:39]
	v_add_f64 v[120:121], v[30:31], v[18:19]
	v_mul_f64 v[92:93], v[104:105], s[14:15]
	v_fma_f64 v[2:3], v[118:119], s[4:5], -v[90:91]
	v_fma_f64 v[4:5], s[10:11], v[100:101], v[88:89]
	v_add_f64 v[0:1], v[24:25], v[0:1]
	v_add_f64 v[108:109], v[32:33], v[36:37]
	v_mul_f64 v[94:95], v[130:131], s[18:19]
	v_add_f64 v[124:125], v[32:33], -v[36:37]
	ds_read_b128 v[56:59], v230 offset:12480
	ds_read_b128 v[60:63], v230 offset:14560
	v_fma_f64 v[6:7], v[120:121], s[10:11], -v[92:93]
	v_add_f64 v[2:3], v[26:27], v[2:3]
	v_add_f64 v[0:1], v[4:5], v[0:1]
	v_fma_f64 v[4:5], s[16:17], v[108:109], v[94:95]
	v_add_f64 v[128:129], v[34:35], v[38:39]
	v_mul_f64 v[96:97], v[124:125], s[18:19]
	s_waitcnt lgkmcnt(4)
	v_add_f64 v[176:177], v[46:47], -v[42:43]
	v_add_f64 v[2:3], v[6:7], v[2:3]
	v_add_f64 v[0:1], v[4:5], v[0:1]
	v_fma_f64 v[4:5], v[128:129], s[16:17], -v[96:97]
	v_add_f64 v[138:139], v[44:45], v[40:41]
	v_mul_f64 v[106:107], v[176:177], s[24:25]
	v_add_f64 v[160:161], v[44:45], -v[40:41]
	v_add_f64 v[2:3], v[4:5], v[2:3]
	v_fma_f64 v[4:5], s[20:21], v[138:139], v[106:107]
	v_add_f64 v[154:155], v[46:47], v[42:43]
	v_mul_f64 v[116:117], v[160:161], s[24:25]
	s_waitcnt lgkmcnt(2)
	v_add_f64 v[186:187], v[50:51], -v[54:55]
	v_add_f64 v[0:1], v[4:5], v[0:1]
	v_fma_f64 v[4:5], v[154:155], s[20:21], -v[116:117]
	v_add_f64 v[146:147], v[48:49], v[52:53]
	v_mul_f64 v[114:115], v[186:187], s[34:35]
	v_add_f64 v[172:173], v[48:49], -v[52:53]
	v_add_f64 v[2:3], v[4:5], v[2:3]
	v_fma_f64 v[4:5], s[26:27], v[146:147], v[114:115]
	v_add_f64 v[156:157], v[50:51], v[54:55]
	v_mul_f64 v[122:123], v[172:173], s[34:35]
	s_waitcnt lgkmcnt(0)
	v_add_f64 v[218:219], v[58:59], -v[62:63]
	v_add_f64 v[0:1], v[4:5], v[0:1]
	v_fma_f64 v[4:5], v[156:157], s[26:27], -v[122:123]
	v_add_f64 v[166:167], v[56:57], v[60:61]
	v_mul_f64 v[126:127], v[218:219], s[36:37]
	v_add_f64 v[200:201], v[56:57], -v[60:61]
	v_add_f64 v[2:3], v[4:5], v[2:3]
	v_fma_f64 v[4:5], s[28:29], v[166:167], v[126:127]
	v_add_f64 v[168:169], v[58:59], v[62:63]
	v_mul_f64 v[132:133], v[200:201], s[36:37]
	v_add_f64 v[0:1], v[4:5], v[0:1]
	v_fma_f64 v[4:5], v[168:169], s[28:29], -v[132:133]
	v_mul_f64 v[134:135], v[110:111], s[14:15]
	v_add_f64 v[2:3], v[4:5], v[2:3]
	v_fma_f64 v[4:5], s[10:11], v[98:99], v[134:135]
	v_mul_f64 v[136:137], v[112:113], s[24:25]
	v_add_f64 v[4:5], v[24:25], v[4:5]
	v_fma_f64 v[6:7], s[20:21], v[100:101], v[136:137]
	v_mul_f64 v[142:143], v[102:103], s[14:15]
	v_add_f64 v[4:5], v[6:7], v[4:5]
	v_fma_f64 v[6:7], v[118:119], s[10:11], -v[142:143]
	v_mul_f64 v[148:149], v[104:105], s[24:25]
	v_add_f64 v[6:7], v[26:27], v[6:7]
	v_fma_f64 v[8:9], v[120:121], s[20:21], -v[148:149]
	v_mul_f64 v[140:141], v[130:131], s[36:37]
	v_add_f64 v[6:7], v[8:9], v[6:7]
	v_fma_f64 v[8:9], s[28:29], v[108:109], v[140:141]
	v_mul_f64 v[152:153], v[124:125], s[36:37]
	v_add_f64 v[4:5], v[8:9], v[4:5]
	v_fma_f64 v[8:9], v[128:129], s[28:29], -v[152:153]
	v_mul_f64 v[144:145], v[176:177], s[30:31]
	v_add_f64 v[6:7], v[8:9], v[6:7]
	v_fma_f64 v[8:9], s[26:27], v[138:139], v[144:145]
	;; [unrolled: 6-line block ×5, first 2 shown]
	v_mul_f64 v[182:183], v[112:113], s[36:37]
	v_add_f64 v[8:9], v[24:25], v[8:9]
	v_fma_f64 v[10:11], s[28:29], v[100:101], v[182:183]
	v_mul_f64 v[192:193], v[102:103], s[18:19]
	v_add_f64 v[8:9], v[10:11], v[8:9]
	v_fma_f64 v[10:11], v[118:119], s[16:17], -v[192:193]
	v_mul_f64 v[198:199], v[104:105], s[36:37]
	v_add_f64 v[10:11], v[26:27], v[10:11]
	v_fma_f64 v[64:65], v[120:121], s[28:29], -v[198:199]
	v_mul_f64 v[190:191], v[130:131], s[42:43]
	v_add_f64 v[10:11], v[64:65], v[10:11]
	v_fma_f64 v[64:65], s[20:21], v[108:109], v[190:191]
	v_mul_f64 v[206:207], v[124:125], s[42:43]
	v_add_f64 v[8:9], v[64:65], v[8:9]
	v_fma_f64 v[64:65], v[128:129], s[20:21], -v[206:207]
	v_mul_f64 v[194:195], v[176:177], s[38:39]
	v_add_f64 v[10:11], v[64:65], v[10:11]
	v_fma_f64 v[64:65], s[4:5], v[138:139], v[194:195]
	;; [unrolled: 6-line block ×4, first 2 shown]
	v_mul_f64 v[222:223], v[200:201], s[34:35]
	v_add_f64 v[8:9], v[64:65], v[8:9]
	v_fma_f64 v[64:65], v[168:169], s[26:27], -v[222:223]
	v_add_f64 v[10:11], v[64:65], v[10:11]
	s_barrier
	s_and_saveexec_b64 s[22:23], vcc
	s_cbranch_execz .LBB0_21
; %bb.20:
	v_mul_f64 v[236:237], v[118:119], s[28:29]
	s_mov_b32 s45, 0x3fcea1e5
	s_mov_b32 s44, s36
	v_mul_f64 v[232:233], v[120:121], s[4:5]
	v_fma_f64 v[238:239], s[44:45], v[102:103], v[236:237]
	v_mul_f64 v[250:251], v[110:111], s[36:37]
	v_mul_f64 v[76:77], v[128:129], s[26:27]
	v_fma_f64 v[234:235], s[12:13], v[104:105], v[232:233]
	v_add_f64 v[238:239], v[26:27], v[238:239]
	v_mul_f64 v[246:247], v[112:113], s[38:39]
	v_fma_f64 v[252:253], s[28:29], v[98:99], v[250:251]
	v_mul_f64 v[72:73], v[154:155], s[10:11]
	v_fma_f64 v[78:79], s[30:31], v[124:125], v[76:77]
	v_add_f64 v[234:235], v[234:235], v[238:239]
	s_mov_b32 s47, 0x3fea55e2
	s_mov_b32 s46, s14
	v_mul_f64 v[242:243], v[130:131], s[34:35]
	v_fma_f64 v[248:249], s[4:5], v[100:101], v[246:247]
	v_add_f64 v[252:253], v[24:25], v[252:253]
	v_mul_f64 v[64:65], v[98:99], s[4:5]
	v_mul_f64 v[70:71], v[156:157], s[20:21]
	v_fma_f64 v[74:75], s[14:15], v[160:161], v[72:73]
	v_add_f64 v[78:79], v[78:79], v[234:235]
	v_mul_f64 v[238:239], v[176:177], s[46:47]
	v_fma_f64 v[244:245], s[26:27], v[108:109], v[242:243]
	v_add_f64 v[248:249], v[248:249], v[252:253]
	v_accvgpr_write_b32 a0, v64
	v_mul_f64 v[68:69], v[168:169], s[16:17]
	v_fma_f64 v[66:67], s[42:43], v[172:173], v[70:71]
	v_add_f64 v[74:75], v[74:75], v[78:79]
	v_mul_f64 v[78:79], v[186:187], s[24:25]
	v_fma_f64 v[240:241], s[10:11], v[138:139], v[238:239]
	v_add_f64 v[244:245], v[244:245], v[248:249]
	v_accvgpr_write_b32 a1, v65
	v_fma_f64 v[64:65], s[18:19], v[200:201], v[68:69]
	v_add_f64 v[66:67], v[66:67], v[74:75]
	v_mul_f64 v[74:75], v[218:219], s[40:41]
	v_fma_f64 v[234:235], s[20:21], v[146:147], v[78:79]
	v_add_f64 v[240:241], v[240:241], v[244:245]
	v_add_f64 v[66:67], v[64:65], v[66:67]
	v_fma_f64 v[64:65], s[16:17], v[166:167], v[74:75]
	v_add_f64 v[234:235], v[234:235], v[240:241]
	v_fmac_f64_e32 v[236:237], s[36:37], v[102:103]
	v_add_f64 v[64:65], v[64:65], v[234:235]
	v_fmac_f64_e32 v[232:233], s[38:39], v[104:105]
	;; [unrolled: 2-line block ×5, first 2 shown]
	v_add_f64 v[72:73], v[72:73], v[76:77]
	v_fma_f64 v[232:233], v[98:99], s[28:29], -v[250:251]
	v_mul_f64 v[244:245], v[118:119], s[26:27]
	v_add_f64 v[70:71], v[70:71], v[72:73]
	v_fma_f64 v[72:73], v[146:147], s[20:21], -v[78:79]
	v_fma_f64 v[78:79], v[100:101], s[4:5], -v[246:247]
	v_add_f64 v[232:233], v[24:25], v[232:233]
	v_mul_f64 v[240:241], v[120:121], s[16:17]
	v_fma_f64 v[246:247], s[30:31], v[102:103], v[244:245]
	v_fmac_f64_e32 v[68:69], s[40:41], v[200:201]
	v_fma_f64 v[76:77], v[108:109], s[26:27], -v[242:243]
	v_add_f64 v[78:79], v[78:79], v[232:233]
	v_mul_f64 v[236:237], v[128:129], s[10:11]
	v_fma_f64 v[242:243], s[18:19], v[104:105], v[240:241]
	v_add_f64 v[246:247], v[26:27], v[246:247]
	v_add_f64 v[70:71], v[68:69], v[70:71]
	v_fma_f64 v[68:69], v[166:167], s[16:17], -v[74:75]
	v_fma_f64 v[74:75], v[138:139], s[10:11], -v[238:239]
	v_add_f64 v[76:77], v[76:77], v[78:79]
	v_mul_f64 v[232:233], v[154:155], s[28:29]
	v_fma_f64 v[238:239], s[46:47], v[124:125], v[236:237]
	v_add_f64 v[242:243], v[242:243], v[246:247]
	v_add_f64 v[74:75], v[74:75], v[76:77]
	v_mul_f64 v[78:79], v[156:157], s[4:5]
	v_fma_f64 v[234:235], s[36:37], v[160:161], v[232:233]
	v_add_f64 v[238:239], v[238:239], v[242:243]
	;; [unrolled: 4-line block ×3, first 2 shown]
	v_mul_f64 v[250:251], v[110:111], s[34:35]
	v_fmac_f64_e32 v[244:245], s[34:35], v[102:103]
	v_add_f64 v[68:69], v[68:69], v[72:73]
	v_fma_f64 v[72:73], s[42:43], v[200:201], v[76:77]
	v_add_f64 v[74:75], v[74:75], v[234:235]
	v_mul_f64 v[248:249], v[112:113], s[40:41]
	v_fma_f64 v[252:253], s[26:27], v[98:99], v[250:251]
	v_fmac_f64_e32 v[240:241], s[40:41], v[104:105]
	v_add_f64 v[244:245], v[26:27], v[244:245]
	v_add_f64 v[74:75], v[72:73], v[74:75]
	v_mul_f64 v[246:247], v[130:131], s[14:15]
	v_fma_f64 v[72:73], s[16:17], v[100:101], v[248:249]
	v_add_f64 v[252:253], v[24:25], v[252:253]
	v_add_f64 v[240:241], v[240:241], v[244:245]
	v_fmac_f64_e32 v[236:237], s[14:15], v[124:125]
	v_mul_f64 v[242:243], v[176:177], s[44:45]
	v_add_f64 v[72:73], v[72:73], v[252:253]
	v_fma_f64 v[252:253], s[10:11], v[108:109], v[246:247]
	v_add_f64 v[236:237], v[236:237], v[240:241]
	v_fmac_f64_e32 v[232:233], s[44:45], v[160:161]
	v_mul_f64 v[238:239], v[186:187], s[38:39]
	v_add_f64 v[72:73], v[252:253], v[72:73]
	v_fma_f64 v[252:253], s[28:29], v[138:139], v[242:243]
	v_fmac_f64_e32 v[78:79], s[38:39], v[172:173]
	v_add_f64 v[232:233], v[232:233], v[236:237]
	v_mul_f64 v[234:235], v[218:219], s[24:25]
	v_add_f64 v[72:73], v[252:253], v[72:73]
	v_fma_f64 v[252:253], s[4:5], v[146:147], v[238:239]
	v_fmac_f64_e32 v[76:77], s[24:25], v[200:201]
	v_add_f64 v[78:79], v[78:79], v[232:233]
	v_add_f64 v[72:73], v[252:253], v[72:73]
	v_fma_f64 v[252:253], s[20:21], v[166:167], v[234:235]
	v_add_f64 v[78:79], v[76:77], v[78:79]
	v_fma_f64 v[76:77], v[166:167], s[20:21], -v[234:235]
	v_fma_f64 v[234:235], v[138:139], s[28:29], -v[242:243]
	v_fma_f64 v[242:243], v[98:99], s[26:27], -v[250:251]
	v_fma_f64 v[232:233], v[146:147], s[4:5], -v[238:239]
	v_fma_f64 v[238:239], v[100:101], s[16:17], -v[248:249]
	v_add_f64 v[242:243], v[24:25], v[242:243]
	v_mul_f64 v[250:251], v[118:119], s[20:21]
	v_mul_f64 v[184:185], v[118:119], s[4:5]
	;; [unrolled: 1-line block ×4, first 2 shown]
	v_fma_f64 v[236:237], v[108:109], s[10:11], -v[246:247]
	v_add_f64 v[238:239], v[238:239], v[242:243]
	v_mul_f64 v[248:249], v[120:121], s[26:27]
	v_fma_f64 v[118:119], s[42:43], v[102:103], v[250:251]
	v_mul_f64 v[188:189], v[120:121], s[10:11]
	v_mul_f64 v[214:215], v[120:121], s[20:21]
	;; [unrolled: 1-line block ×3, first 2 shown]
	v_add_f64 v[236:237], v[236:237], v[238:239]
	v_mul_f64 v[246:247], v[128:129], s[4:5]
	v_fma_f64 v[120:121], s[34:35], v[104:105], v[248:249]
	v_add_f64 v[118:119], v[26:27], v[118:119]
	v_add_f64 v[234:235], v[234:235], v[236:237]
	v_mul_f64 v[242:243], v[154:155], s[16:17]
	v_add_f64 v[118:119], v[120:121], v[118:119]
	v_fma_f64 v[120:121], s[12:13], v[124:125], v[246:247]
	v_add_f64 v[232:233], v[232:233], v[234:235]
	v_mul_f64 v[236:237], v[156:157], s[28:29]
	v_add_f64 v[118:119], v[120:121], v[118:119]
	v_fma_f64 v[120:121], s[40:41], v[160:161], v[242:243]
	v_add_f64 v[76:77], v[76:77], v[232:233]
	v_mul_f64 v[232:233], v[168:169], s[10:11]
	v_fma_f64 v[238:239], s[36:37], v[172:173], v[236:237]
	v_add_f64 v[118:119], v[120:121], v[118:119]
	v_fma_f64 v[234:235], s[14:15], v[200:201], v[232:233]
	v_add_f64 v[118:119], v[238:239], v[118:119]
	v_mul_f64 v[110:111], v[110:111], s[24:25]
	v_add_f64 v[120:121], v[234:235], v[118:119]
	v_mul_f64 v[112:113], v[112:113], s[30:31]
	v_fma_f64 v[234:235], s[20:21], v[98:99], v[110:111]
	v_mul_f64 v[130:131], v[130:131], s[38:39]
	v_fma_f64 v[118:119], s[26:27], v[100:101], v[112:113]
	v_add_f64 v[234:235], v[24:25], v[234:235]
	v_mul_f64 v[176:177], v[176:177], s[18:19]
	v_add_f64 v[118:119], v[118:119], v[234:235]
	v_fma_f64 v[234:235], s[4:5], v[108:109], v[130:131]
	v_mul_f64 v[186:187], v[186:187], s[44:45]
	v_add_f64 v[118:119], v[234:235], v[118:119]
	v_fma_f64 v[234:235], s[16:17], v[138:139], v[176:177]
	v_mul_f64 v[196:197], v[98:99], s[10:11]
	v_mul_f64 v[220:221], v[98:99], s[16:17]
	;; [unrolled: 1-line block ×3, first 2 shown]
	v_add_f64 v[118:119], v[234:235], v[118:119]
	v_fma_f64 v[234:235], s[28:29], v[146:147], v[186:187]
	v_fma_f64 v[98:99], v[98:99], s[20:21], -v[110:111]
	v_mul_f64 v[180:181], v[100:101], s[10:11]
	v_mul_f64 v[204:205], v[100:101], s[20:21]
	;; [unrolled: 1-line block ×3, first 2 shown]
	v_add_f64 v[118:119], v[234:235], v[118:119]
	v_fma_f64 v[234:235], s[10:11], v[166:167], v[218:219]
	v_fma_f64 v[100:101], v[100:101], s[26:27], -v[112:113]
	v_add_f64 v[98:99], v[24:25], v[98:99]
	v_add_f64 v[72:73], v[252:253], v[72:73]
	v_mul_f64 v[252:253], v[108:109], s[16:17]
	v_mul_f64 v[244:245], v[108:109], s[28:29]
	v_add_f64 v[118:119], v[234:235], v[118:119]
	v_mul_f64 v[234:235], v[108:109], s[20:21]
	v_fma_f64 v[108:109], v[108:109], s[4:5], -v[130:131]
	v_add_f64 v[98:99], v[100:101], v[98:99]
	v_mul_f64 v[238:239], v[138:139], s[20:21]
	v_fmac_f64_e32 v[236:237], s[44:45], v[172:173]
	v_mul_f64 v[172:173], v[138:139], s[26:27]
	v_fmac_f64_e32 v[246:247], s[38:39], v[124:125]
	v_mul_f64 v[124:125], v[138:139], s[4:5]
	v_fmac_f64_e32 v[250:251], s[24:25], v[102:103]
	v_fma_f64 v[138:139], v[138:139], s[16:17], -v[176:177]
	v_add_f64 v[98:99], v[108:109], v[98:99]
	v_mul_f64 v[254:255], v[128:129], s[16:17]
	v_mul_f64 v[240:241], v[128:129], s[28:29]
	v_mul_f64 v[128:129], v[128:129], s[20:21]
	v_fmac_f64_e32 v[248:249], s[30:31], v[104:105]
	v_add_f64 v[102:103], v[26:27], v[250:251]
	v_add_f64 v[98:99], v[138:139], v[98:99]
	;; [unrolled: 1-line block ×7, first 2 shown]
	v_fmac_f64_e32 v[232:233], s[46:47], v[200:201]
	v_mul_f64 v[200:201], v[154:155], s[20:21]
	v_fmac_f64_e32 v[242:243], s[18:19], v[160:161]
	v_mul_f64 v[160:161], v[154:155], s[26:27]
	v_mul_f64 v[154:155], v[154:155], s[4:5]
	v_add_f64 v[102:103], v[246:247], v[102:103]
	v_add_f64 v[128:129], v[128:129], v[138:139]
	v_add_f64 v[138:139], v[220:221], -v[178:179]
	v_mul_f64 v[104:105], v[146:147], s[26:27]
	v_mul_f64 v[86:87], v[156:157], s[26:27]
	;; [unrolled: 1-line block ×4, first 2 shown]
	v_add_f64 v[102:103], v[242:243], v[102:103]
	v_mul_f64 v[242:243], v[146:147], s[10:11]
	v_mul_f64 v[156:157], v[156:157], s[10:11]
	v_fma_f64 v[146:147], v[146:147], s[28:29], -v[186:187]
	v_add_f64 v[110:111], v[212:213], v[154:155]
	v_add_f64 v[112:113], v[112:113], v[128:129]
	v_add_f64 v[128:129], v[224:225], -v[182:183]
	v_add_f64 v[138:139], v[24:25], v[138:139]
	v_add_f64 v[22:23], v[26:27], v[22:23]
	v_mul_f64 v[186:187], v[168:169], s[28:29]
	v_mul_f64 v[130:131], v[168:169], s[4:5]
	v_fma_f64 v[218:219], v[166:167], s[10:11], -v[218:219]
	v_mul_f64 v[168:169], v[168:169], s[26:27]
	v_add_f64 v[98:99], v[146:147], v[98:99]
	v_add_f64 v[108:109], v[216:217], v[156:157]
	v_add_f64 v[110:111], v[110:111], v[112:113]
	v_add_f64 v[112:113], v[124:125], -v[194:195]
	v_add_f64 v[124:125], v[234:235], -v[190:191]
	v_add_f64 v[128:129], v[128:129], v[138:139]
	v_add_f64 v[22:23], v[22:23], v[30:31]
	;; [unrolled: 1-line block ×8, first 2 shown]
	v_mul_f64 v[236:237], v[166:167], s[28:29]
	v_mul_f64 v[176:177], v[166:167], s[4:5]
	;; [unrolled: 1-line block ×3, first 2 shown]
	v_add_f64 v[110:111], v[98:99], v[108:109]
	v_add_f64 v[108:109], v[242:243], -v[202:203]
	v_add_f64 v[112:113], v[112:113], v[124:125]
	v_add_f64 v[22:23], v[22:23], v[46:47]
	v_add_f64 v[98:99], v[166:167], -v[208:209]
	v_add_f64 v[108:109], v[108:109], v[112:113]
	v_add_f64 v[138:139], v[142:143], v[210:211]
	v_add_f64 v[22:23], v[22:23], v[50:51]
	v_add_f64 v[108:109], v[98:99], v[108:109]
	v_add_f64 v[98:99], v[170:171], v[130:131]
	v_add_f64 v[130:131], v[148:149], v[214:215]
	v_add_f64 v[138:139], v[26:27], v[138:139]
	v_add_f64 v[22:23], v[22:23], v[58:59]
	v_add_f64 v[128:129], v[152:153], v[240:241]
	v_add_f64 v[130:131], v[130:131], v[138:139]
	v_add_f64 v[134:135], v[196:197], -v[134:135]
	v_add_f64 v[22:23], v[22:23], v[62:63]
	v_add_f64 v[124:125], v[158:159], v[160:161]
	;; [unrolled: 1-line block ×3, first 2 shown]
	v_add_f64 v[136:137], v[204:205], -v[136:137]
	v_add_f64 v[134:135], v[24:25], v[134:135]
	v_add_f64 v[22:23], v[22:23], v[54:55]
	;; [unrolled: 1-line block ×4, first 2 shown]
	v_add_f64 v[128:129], v[244:245], -v[140:141]
	v_add_f64 v[134:135], v[136:137], v[134:135]
	v_add_f64 v[22:23], v[22:23], v[42:43]
	v_add_f64 v[112:113], v[112:113], v[124:125]
	v_add_f64 v[124:125], v[172:173], -v[144:145]
	v_add_f64 v[128:129], v[128:129], v[134:135]
	v_add_f64 v[90:91], v[90:91], v[184:185]
	v_add_f64 v[22:23], v[22:23], v[38:39]
	v_add_f64 v[130:131], v[98:99], v[112:113]
	v_add_f64 v[112:113], v[248:249], -v[150:151]
	v_add_f64 v[124:125], v[124:125], v[128:129]
	;; [unrolled: 5-line block ×3, first 2 shown]
	v_add_f64 v[96:97], v[96:97], v[254:255]
	v_add_f64 v[90:91], v[92:93], v[90:91]
	v_add_f64 v[14:15], v[18:19], v[14:15]
	v_add_f64 v[18:19], v[24:25], v[20:21]
	v_add_f64 v[128:129], v[98:99], v[112:113]
	v_add_f64 v[112:113], v[116:117], v[200:201]
	v_add_f64 v[90:91], v[96:97], v[90:91]
	v_add_f64 v[18:19], v[18:19], v[28:29]
	v_add_f64 v[86:87], v[122:123], v[86:87]
	v_add_f64 v[90:91], v[112:113], v[90:91]
	v_add_f64 v[18:19], v[18:19], v[32:33]
	v_add_f64 v[98:99], v[132:133], v[186:187]
	v_add_f64 v[86:87], v[86:87], v[90:91]
	v_add_f64 v[18:19], v[18:19], v[44:45]
	v_add_f64 v[90:91], v[98:99], v[86:87]
	v_accvgpr_read_b32 v99, a1
	v_add_f64 v[18:19], v[18:19], v[48:49]
	v_accvgpr_read_b32 v98, a0
	v_add_f64 v[18:19], v[18:19], v[56:57]
	v_add_f64 v[98:99], v[98:99], -v[174:175]
	v_add_f64 v[18:19], v[18:19], v[60:61]
	v_add_f64 v[88:89], v[180:181], -v[88:89]
	v_add_f64 v[98:99], v[24:25], v[98:99]
	v_add_f64 v[18:19], v[18:19], v[52:53]
	v_add_f64 v[94:95], v[252:253], -v[94:95]
	v_add_f64 v[88:89], v[88:89], v[98:99]
	v_add_f64 v[18:19], v[18:19], v[40:41]
	v_add_f64 v[96:97], v[238:239], -v[106:107]
	v_add_f64 v[88:89], v[94:95], v[88:89]
	v_add_f64 v[18:19], v[18:19], v[36:37]
	v_add_f64 v[92:93], v[104:105], -v[114:115]
	v_add_f64 v[88:89], v[96:97], v[88:89]
	v_add_f64 v[16:17], v[18:19], v[16:17]
	s_movk_i32 s4, 0xc0
	v_add_f64 v[86:87], v[236:237], -v[126:127]
	v_add_f64 v[88:89], v[92:93], v[88:89]
	v_add_f64 v[12:13], v[16:17], v[12:13]
	v_mad_u32_u24 v16, v84, s4, v230
	v_add_f64 v[102:103], v[232:233], v[102:103]
	v_add_f64 v[88:89], v[86:87], v[88:89]
	ds_write_b128 v16, v[12:15]
	ds_write_b128 v16, v[88:91] offset:16
	ds_write_b128 v16, v[128:131] offset:32
	;; [unrolled: 1-line block ×12, first 2 shown]
.LBB0_21:
	s_or_b64 exec, exec, s[22:23]
	s_movk_i32 s4, 0x4f
	v_mul_lo_u16_sdwa v12, v84, s4 dst_sel:DWORD dst_unused:UNUSED_PAD src0_sel:BYTE_0 src1_sel:DWORD
	v_lshrrev_b16_e32 v85, 10, v12
	v_mul_lo_u16_e32 v12, 13, v85
	v_sub_u16_e32 v112, v84, v12
	v_mov_b32_e32 v12, 9
	v_mul_u32_u24_sdwa v12, v112, v12 dst_sel:DWORD dst_unused:UNUSED_PAD src0_sel:BYTE_0 src1_sel:DWORD
	v_lshlrev_b32_e32 v44, 4, v12
	s_waitcnt lgkmcnt(0)
	s_barrier
	global_load_dwordx4 v[12:15], v44, s[8:9]
	global_load_dwordx4 v[16:19], v44, s[8:9] offset:16
	global_load_dwordx4 v[20:23], v44, s[8:9] offset:32
	;; [unrolled: 1-line block ×8, first 2 shown]
	ds_read_b128 v[44:47], v230
	ds_read_b128 v[52:55], v230 offset:2704
	ds_read_b128 v[56:59], v230 offset:5408
	;; [unrolled: 1-line block ×9, first 2 shown]
	s_mov_b32 s14, 0x134454ff
	s_mov_b32 s15, 0x3fee6f0e
	;; [unrolled: 1-line block ×12, first 2 shown]
	s_waitcnt lgkmcnt(0)
	s_barrier
	s_waitcnt vmcnt(8)
	v_mul_f64 v[94:95], v[54:55], v[14:15]
	v_mul_f64 v[96:97], v[52:53], v[14:15]
	s_waitcnt vmcnt(7)
	v_mul_f64 v[14:15], v[58:59], v[18:19]
	v_mul_f64 v[18:19], v[56:57], v[18:19]
	;; [unrolled: 3-line block ×4, first 2 shown]
	v_mul_f64 v[22:23], v[60:61], v[22:23]
	v_mul_f64 v[102:103], v[70:71], v[30:31]
	;; [unrolled: 1-line block ×4, first 2 shown]
	s_waitcnt vmcnt(2)
	v_mul_f64 v[106:107], v[78:79], v[38:39]
	v_mul_f64 v[38:39], v[76:77], v[38:39]
	s_waitcnt vmcnt(1)
	v_mul_f64 v[108:109], v[88:89], v[42:43]
	v_mul_f64 v[42:43], v[86:87], v[42:43]
	;; [unrolled: 3-line block ×3, first 2 shown]
	v_fma_f64 v[52:53], v[52:53], v[12:13], -v[94:95]
	v_fmac_f64_e32 v[96:97], v[54:55], v[12:13]
	v_fma_f64 v[12:13], v[56:57], v[16:17], -v[14:15]
	v_fmac_f64_e32 v[18:19], v[58:59], v[16:17]
	;; [unrolled: 2-line block ×3, first 2 shown]
	v_fma_f64 v[24:25], v[72:73], v[32:33], -v[104:105]
	v_fma_f64 v[14:15], v[60:61], v[20:21], -v[98:99]
	v_fmac_f64_e32 v[22:23], v[62:63], v[20:21]
	v_fma_f64 v[20:21], v[68:69], v[28:29], -v[102:103]
	v_fmac_f64_e32 v[30:31], v[70:71], v[28:29]
	v_fmac_f64_e32 v[34:35], v[74:75], v[32:33]
	v_fma_f64 v[28:29], v[76:77], v[36:37], -v[106:107]
	v_fmac_f64_e32 v[38:39], v[78:79], v[36:37]
	v_fma_f64 v[32:33], v[86:87], v[40:41], -v[108:109]
	;; [unrolled: 2-line block ×3, first 2 shown]
	v_fmac_f64_e32 v[50:51], v[92:93], v[48:49]
	v_add_f64 v[48:49], v[16:17], v[24:25]
	v_add_f64 v[54:55], v[18:19], -v[42:43]
	v_add_f64 v[58:59], v[12:13], -v[16:17]
	;; [unrolled: 1-line block ×3, first 2 shown]
	v_fma_f64 v[48:49], -0.5, v[48:49], v[44:45]
	v_add_f64 v[56:57], v[26:27], -v[34:35]
	v_add_f64 v[62:63], v[12:13], v[32:33]
	v_add_f64 v[58:59], v[58:59], v[60:61]
	v_fma_f64 v[60:61], s[14:15], v[54:55], v[48:49]
	v_fmac_f64_e32 v[48:49], s[10:11], v[54:55]
	v_add_f64 v[40:41], v[44:45], v[12:13]
	v_fmac_f64_e32 v[60:61], s[16:17], v[56:57]
	v_fmac_f64_e32 v[48:49], s[12:13], v[56:57]
	v_fmac_f64_e32 v[44:45], -0.5, v[62:63]
	v_add_f64 v[40:41], v[40:41], v[16:17]
	v_fmac_f64_e32 v[60:61], s[4:5], v[58:59]
	v_fmac_f64_e32 v[48:49], s[4:5], v[58:59]
	v_fma_f64 v[58:59], s[10:11], v[56:57], v[44:45]
	v_add_f64 v[62:63], v[16:17], -v[12:13]
	v_add_f64 v[64:65], v[24:25], -v[32:33]
	v_fmac_f64_e32 v[44:45], s[14:15], v[56:57]
	v_add_f64 v[56:57], v[26:27], v[34:35]
	v_add_f64 v[40:41], v[40:41], v[24:25]
	v_fmac_f64_e32 v[58:59], s[16:17], v[54:55]
	v_add_f64 v[62:63], v[62:63], v[64:65]
	v_fmac_f64_e32 v[44:45], s[12:13], v[54:55]
	v_fma_f64 v[56:57], -0.5, v[56:57], v[46:47]
	v_add_f64 v[12:13], v[12:13], -v[32:33]
	v_add_f64 v[40:41], v[40:41], v[32:33]
	v_fmac_f64_e32 v[58:59], s[4:5], v[62:63]
	v_fmac_f64_e32 v[44:45], s[4:5], v[62:63]
	v_fma_f64 v[62:63], s[10:11], v[12:13], v[56:57]
	v_add_f64 v[16:17], v[16:17], -v[24:25]
	v_add_f64 v[24:25], v[18:19], -v[26:27]
	;; [unrolled: 1-line block ×3, first 2 shown]
	v_fmac_f64_e32 v[56:57], s[14:15], v[12:13]
	v_fmac_f64_e32 v[62:63], s[12:13], v[16:17]
	v_add_f64 v[24:25], v[24:25], v[32:33]
	v_fmac_f64_e32 v[56:57], s[16:17], v[16:17]
	v_fmac_f64_e32 v[62:63], s[4:5], v[24:25]
	;; [unrolled: 1-line block ×3, first 2 shown]
	v_add_f64 v[24:25], v[18:19], v[42:43]
	v_add_f64 v[54:55], v[46:47], v[18:19]
	v_fmac_f64_e32 v[46:47], -0.5, v[24:25]
	v_fma_f64 v[64:65], s[14:15], v[16:17], v[46:47]
	v_fmac_f64_e32 v[46:47], s[10:11], v[16:17]
	v_fmac_f64_e32 v[64:65], s[12:13], v[12:13]
	;; [unrolled: 1-line block ×3, first 2 shown]
	v_add_f64 v[12:13], v[52:53], v[14:15]
	v_add_f64 v[12:13], v[12:13], v[20:21]
	;; [unrolled: 1-line block ×4, first 2 shown]
	v_add_f64 v[18:19], v[26:27], -v[18:19]
	v_add_f64 v[24:25], v[34:35], -v[42:43]
	v_add_f64 v[32:33], v[12:13], v[36:37]
	v_add_f64 v[12:13], v[20:21], v[28:29]
	;; [unrolled: 1-line block ×4, first 2 shown]
	v_fma_f64 v[34:35], -0.5, v[12:13], v[52:53]
	v_add_f64 v[12:13], v[22:23], -v[50:51]
	v_fmac_f64_e32 v[64:65], s[4:5], v[18:19]
	v_fmac_f64_e32 v[46:47], s[4:5], v[18:19]
	v_fma_f64 v[18:19], s[14:15], v[12:13], v[34:35]
	v_add_f64 v[16:17], v[30:31], -v[38:39]
	v_add_f64 v[24:25], v[14:15], -v[20:21]
	;; [unrolled: 1-line block ×3, first 2 shown]
	v_fmac_f64_e32 v[34:35], s[10:11], v[12:13]
	v_fmac_f64_e32 v[18:19], s[16:17], v[16:17]
	v_add_f64 v[24:25], v[24:25], v[26:27]
	v_fmac_f64_e32 v[34:35], s[12:13], v[16:17]
	v_fmac_f64_e32 v[18:19], s[4:5], v[24:25]
	;; [unrolled: 1-line block ×3, first 2 shown]
	v_add_f64 v[24:25], v[14:15], v[36:37]
	v_fmac_f64_e32 v[52:53], -0.5, v[24:25]
	v_fma_f64 v[26:27], s[10:11], v[16:17], v[52:53]
	v_fmac_f64_e32 v[52:53], s[14:15], v[16:17]
	v_fmac_f64_e32 v[26:27], s[16:17], v[12:13]
	;; [unrolled: 1-line block ×3, first 2 shown]
	v_add_f64 v[12:13], v[96:97], v[22:23]
	v_add_f64 v[12:13], v[12:13], v[30:31]
	v_add_f64 v[54:55], v[54:55], v[42:43]
	v_add_f64 v[24:25], v[20:21], -v[14:15]
	v_add_f64 v[42:43], v[28:29], -v[36:37]
	v_add_f64 v[12:13], v[12:13], v[38:39]
	v_add_f64 v[24:25], v[24:25], v[42:43]
	;; [unrolled: 1-line block ×4, first 2 shown]
	v_fma_f64 v[66:67], -0.5, v[12:13], v[96:97]
	v_add_f64 v[12:13], v[14:15], -v[36:37]
	v_fma_f64 v[36:37], s[10:11], v[12:13], v[66:67]
	v_add_f64 v[14:15], v[20:21], -v[28:29]
	v_add_f64 v[16:17], v[22:23], -v[30:31]
	v_add_f64 v[20:21], v[50:51], -v[38:39]
	v_fmac_f64_e32 v[66:67], s[14:15], v[12:13]
	v_fmac_f64_e32 v[36:37], s[12:13], v[14:15]
	v_add_f64 v[16:17], v[16:17], v[20:21]
	v_fmac_f64_e32 v[66:67], s[16:17], v[14:15]
	v_fmac_f64_e32 v[36:37], s[4:5], v[16:17]
	;; [unrolled: 1-line block ×3, first 2 shown]
	v_add_f64 v[16:17], v[22:23], v[50:51]
	v_fmac_f64_e32 v[96:97], -0.5, v[16:17]
	v_fma_f64 v[68:69], s[14:15], v[14:15], v[96:97]
	v_add_f64 v[16:17], v[30:31], -v[22:23]
	v_add_f64 v[20:21], v[38:39], -v[50:51]
	v_fmac_f64_e32 v[68:69], s[12:13], v[12:13]
	v_add_f64 v[16:17], v[16:17], v[20:21]
	v_fmac_f64_e32 v[96:97], s[10:11], v[14:15]
	v_fmac_f64_e32 v[68:69], s[4:5], v[16:17]
	v_fmac_f64_e32 v[96:97], s[16:17], v[12:13]
	v_fmac_f64_e32 v[26:27], s[4:5], v[24:25]
	v_fmac_f64_e32 v[96:97], s[4:5], v[16:17]
	v_mul_f64 v[50:51], v[68:69], s[14:15]
	v_fmac_f64_e32 v[52:53], s[4:5], v[24:25]
	v_fmac_f64_e32 v[50:51], s[4:5], v[26:27]
	v_mul_f64 v[76:77], v[26:27], s[10:11]
	v_mul_f64 v[26:27], v[96:97], s[4:5]
	;; [unrolled: 1-line block ×3, first 2 shown]
	v_fma_f64 v[52:53], v[52:53], s[10:11], -v[26:27]
	v_mul_f64 v[38:39], v[36:37], s[16:17]
	v_fma_f64 v[70:71], v[96:97], s[14:15], -v[14:15]
	v_mul_f64 v[14:15], v[34:35], s[18:19]
	v_mul_f64 v[74:75], v[18:19], s[12:13]
	v_add_f64 v[26:27], v[46:47], v[52:53]
	v_mul_f64 v[30:31], v[66:67], s[18:19]
	v_add_f64 v[46:47], v[46:47], -v[52:53]
	v_mov_b32_e32 v53, 4
	v_fmac_f64_e32 v[38:39], s[18:19], v[18:19]
	v_fma_f64 v[72:73], v[66:67], s[16:17], -v[14:15]
	v_fmac_f64_e32 v[74:75], s[18:19], v[36:37]
	v_fmac_f64_e32 v[76:77], s[4:5], v[68:69]
	v_fma_f64 v[66:67], v[34:35], s[12:13], -v[30:31]
	v_mul_u32_u24_e32 v52, 0x820, v85
	v_lshlrev_b32_sdwa v53, v53, v112 dst_sel:DWORD dst_unused:UNUSED_PAD src0_sel:DWORD src1_sel:BYTE_0
	v_add_f64 v[12:13], v[40:41], v[32:33]
	v_add_f64 v[16:17], v[60:61], v[38:39]
	;; [unrolled: 1-line block ×9, first 2 shown]
	v_add_f64 v[32:33], v[40:41], -v[32:33]
	v_add_f64 v[36:37], v[60:61], -v[38:39]
	;; [unrolled: 1-line block ×9, first 2 shown]
	v_add3_u32 v52, 0, v52, v53
	ds_write_b128 v52, v[12:15]
	ds_write_b128 v52, v[16:19] offset:208
	ds_write_b128 v52, v[20:23] offset:416
	;; [unrolled: 1-line block ×9, first 2 shown]
	s_waitcnt lgkmcnt(0)
	s_barrier
	s_and_saveexec_b64 s[4:5], vcc
	s_cbranch_execz .LBB0_23
; %bb.22:
	ds_read_b128 v[12:15], v230
	ds_read_b128 v[16:19], v230 offset:2080
	ds_read_b128 v[20:23], v230 offset:4160
	;; [unrolled: 1-line block ×12, first 2 shown]
.LBB0_23:
	s_or_b64 exec, exec, s[4:5]
	s_waitcnt lgkmcnt(0)
	s_barrier
	s_and_saveexec_b64 s[4:5], vcc
	s_cbranch_execz .LBB0_25
; %bb.24:
	v_add_u32_e32 v52, 0xffffff7e, v84
	v_cndmask_b32_e32 v52, v52, v84, vcc
	v_mul_i32_i24_e32 v52, 12, v52
	v_mov_b32_e32 v53, 0
	v_lshl_add_u64 v[52:53], v[52:53], 4, s[8:9]
	global_load_dwordx4 v[72:75], v[52:53], off offset:1952
	global_load_dwordx4 v[76:79], v[52:53], off offset:1968
	;; [unrolled: 1-line block ×12, first 2 shown]
	s_mov_b32 s22, 0xe00740e9
	s_mov_b32 s36, 0x4bc48dbf
	;; [unrolled: 1-line block ×33, first 2 shown]
	s_waitcnt vmcnt(11)
	v_mul_f64 v[52:53], v[36:37], v[74:75]
	s_waitcnt vmcnt(10)
	v_mul_f64 v[54:55], v[40:41], v[78:79]
	v_mul_f64 v[74:75], v[38:39], v[74:75]
	;; [unrolled: 1-line block ×3, first 2 shown]
	v_fmac_f64_e32 v[52:53], v[38:39], v[72:73]
	v_fmac_f64_e32 v[54:55], v[42:43], v[76:77]
	v_fma_f64 v[36:37], v[36:37], v[72:73], -v[74:75]
	v_fma_f64 v[38:39], v[40:41], v[76:77], -v[78:79]
	s_waitcnt vmcnt(3)
	v_mul_f64 v[70:71], v[20:21], v[112:113]
	s_waitcnt vmcnt(2)
	v_mul_f64 v[66:67], v[4:5], v[116:117]
	;; [unrolled: 2-line block ×4, first 2 shown]
	v_fmac_f64_e32 v[76:77], v[18:19], v[122:123]
	v_fmac_f64_e32 v[74:75], v[2:3], v[118:119]
	v_mul_f64 v[18:19], v[18:19], v[124:125]
	v_mul_f64 v[2:3], v[2:3], v[120:121]
	;; [unrolled: 1-line block ×13, first 2 shown]
	v_fmac_f64_e32 v[70:71], v[22:23], v[110:111]
	v_fmac_f64_e32 v[66:67], v[6:7], v[114:115]
	v_mul_f64 v[22:23], v[22:23], v[112:113]
	v_mul_f64 v[6:7], v[6:7], v[116:117]
	v_add_f64 v[116:117], v[76:77], v[74:75]
	v_fma_f64 v[78:79], v[16:17], v[122:123], -v[18:19]
	v_fma_f64 v[72:73], v[0:1], v[118:119], -v[2:3]
	v_mul_f64 v[104:105], v[26:27], v[104:105]
	v_fmac_f64_e32 v[58:59], v[34:35], v[86:87]
	v_fma_f64 v[34:35], v[32:33], v[86:87], -v[88:89]
	v_fma_f64 v[32:33], v[44:45], v[90:91], -v[92:93]
	v_fmac_f64_e32 v[60:61], v[50:51], v[98:99]
	v_fma_f64 v[44:45], v[28:29], v[94:95], -v[96:97]
	v_fma_f64 v[40:41], v[48:49], v[98:99], -v[100:101]
	v_fmac_f64_e32 v[68:69], v[26:27], v[102:103]
	v_fmac_f64_e32 v[62:63], v[10:11], v[106:107]
	v_fma_f64 v[42:43], v[8:9], v[106:107], -v[108:109]
	v_add_f64 v[106:107], v[70:71], v[66:67]
	v_fma_f64 v[50:51], v[20:21], v[110:111], -v[22:23]
	v_fma_f64 v[48:49], v[4:5], v[114:115], -v[6:7]
	v_mul_f64 v[6:7], v[116:117], s[28:29]
	v_add_f64 v[96:97], v[78:79], -v[72:73]
	v_fmac_f64_e32 v[56:57], v[46:47], v[90:91]
	v_fmac_f64_e32 v[64:65], v[30:31], v[94:95]
	v_fma_f64 v[46:47], v[24:25], v[102:103], -v[104:105]
	v_add_f64 v[104:105], v[68:69], v[62:63]
	v_mul_f64 v[28:29], v[106:107], s[22:23]
	v_add_f64 v[94:95], v[50:51], -v[48:49]
	v_fma_f64 v[0:1], s[36:37], v[96:97], v[6:7]
	v_add_f64 v[102:103], v[64:65], v[60:61]
	v_add_f64 v[92:93], v[46:47], -v[42:43]
	v_mul_f64 v[26:27], v[104:105], s[18:19]
	v_fma_f64 v[4:5], s[26:27], v[94:95], v[28:29]
	v_add_f64 v[0:1], v[14:15], v[0:1]
	v_add_f64 v[100:101], v[58:59], v[56:57]
	v_add_f64 v[90:91], v[44:45], -v[40:41]
	v_mul_f64 v[24:25], v[102:103], s[14:15]
	v_fma_f64 v[128:129], s[24:25], v[92:93], v[26:27]
	v_add_f64 v[0:1], v[4:5], v[0:1]
	;; [unrolled: 5-line block ×3, first 2 shown]
	v_add_f64 v[132:133], v[76:77], -v[74:75]
	v_add_f64 v[86:87], v[36:37], -v[38:39]
	v_mul_f64 v[8:9], v[98:99], s[8:9]
	v_fma_f64 v[108:109], s[20:21], v[88:89], v[10:11]
	v_add_f64 v[0:1], v[126:127], v[0:1]
	v_add_f64 v[130:131], v[70:71], -v[66:67]
	v_add_f64 v[120:121], v[78:79], v[72:73]
	v_mul_f64 v[140:141], v[132:133], s[40:41]
	v_fma_f64 v[30:31], s[12:13], v[86:87], v[8:9]
	v_add_f64 v[0:1], v[108:109], v[0:1]
	v_add_f64 v[128:129], v[68:69], -v[62:63]
	v_add_f64 v[118:119], v[50:51], v[48:49]
	v_mul_f64 v[136:137], v[130:131], s[44:45]
	v_fma_f64 v[142:143], s[28:29], v[120:121], v[140:141]
	v_fmac_f64_e32 v[6:7], s[40:41], v[96:97]
	v_add_f64 v[2:3], v[30:31], v[0:1]
	v_add_f64 v[126:127], v[64:65], -v[60:61]
	v_add_f64 v[114:115], v[46:47], v[42:43]
	v_mul_f64 v[30:31], v[128:129], s[34:35]
	v_fma_f64 v[138:139], s[22:23], v[118:119], v[136:137]
	v_add_f64 v[142:143], v[12:13], v[142:143]
	v_fmac_f64_e32 v[28:29], s[44:45], v[94:95]
	v_add_f64 v[6:7], v[14:15], v[6:7]
	v_add_f64 v[124:125], v[58:59], -v[56:57]
	v_add_f64 v[112:113], v[44:45], v[40:41]
	v_mul_f64 v[20:21], v[126:127], s[42:43]
	v_fma_f64 v[134:135], s[18:19], v[114:115], v[30:31]
	v_add_f64 v[138:139], v[138:139], v[142:143]
	;; [unrolled: 7-line block ×3, first 2 shown]
	v_fmac_f64_e32 v[24:25], s[42:43], v[90:91]
	v_add_f64 v[6:7], v[26:27], v[6:7]
	v_add_f64 v[108:109], v[36:37], v[38:39]
	v_mul_f64 v[4:5], v[122:123], s[38:39]
	v_fma_f64 v[18:19], s[10:11], v[110:111], v[16:17]
	v_add_f64 v[22:23], v[22:23], v[134:135]
	v_fmac_f64_e32 v[10:11], s[30:31], v[88:89]
	v_add_f64 v[6:7], v[24:25], v[6:7]
	v_fma_f64 v[0:1], s[8:9], v[108:109], v[4:5]
	v_add_f64 v[18:19], v[18:19], v[22:23]
	v_add_f64 v[6:7], v[10:11], v[6:7]
	v_fma_f64 v[10:11], v[112:113], s[14:15], -v[20:21]
	v_fma_f64 v[20:21], v[120:121], s[28:29], -v[140:141]
	v_mul_f64 v[134:135], v[116:117], s[18:19]
	v_add_f64 v[0:1], v[0:1], v[18:19]
	v_fmac_f64_e32 v[8:9], s[38:39], v[86:87]
	v_fma_f64 v[18:19], v[118:119], s[22:23], -v[136:137]
	v_add_f64 v[20:21], v[12:13], v[20:21]
	v_mul_f64 v[28:29], v[106:107], s[8:9]
	v_fma_f64 v[136:137], s[24:25], v[96:97], v[134:135]
	v_mul_f64 v[148:149], v[132:133], s[34:35]
	v_add_f64 v[6:7], v[8:9], v[6:7]
	v_fma_f64 v[8:9], v[110:111], s[10:11], -v[16:17]
	v_fma_f64 v[16:17], v[114:115], s[18:19], -v[30:31]
	v_add_f64 v[18:19], v[18:19], v[20:21]
	v_mul_f64 v[24:25], v[104:105], s[14:15]
	v_fma_f64 v[30:31], s[12:13], v[94:95], v[28:29]
	v_add_f64 v[136:137], v[14:15], v[136:137]
	v_mul_f64 v[144:145], v[130:131], s[38:39]
	v_fma_f64 v[150:151], s[18:19], v[120:121], v[148:149]
	;; [unrolled: 3-line block ×4, first 2 shown]
	v_add_f64 v[150:151], v[12:13], v[150:151]
	v_add_f64 v[10:11], v[10:11], v[16:17]
	v_mul_f64 v[18:19], v[100:101], s[22:23]
	v_fma_f64 v[22:23], s[40:41], v[90:91], v[20:21]
	v_add_f64 v[26:27], v[26:27], v[30:31]
	v_mul_f64 v[136:137], v[126:127], s[36:37]
	v_fma_f64 v[142:143], s[14:15], v[114:115], v[140:141]
	v_add_f64 v[146:147], v[146:147], v[150:151]
	v_fma_f64 v[4:5], v[108:109], s[8:9], -v[4:5]
	v_add_f64 v[8:9], v[8:9], v[10:11]
	v_mul_f64 v[16:17], v[98:99], s[10:11]
	v_fma_f64 v[10:11], s[26:27], v[88:89], v[18:19]
	v_add_f64 v[22:23], v[22:23], v[26:27]
	v_mul_f64 v[26:27], v[124:125], s[44:45]
	v_fma_f64 v[138:139], s[28:29], v[112:113], v[136:137]
	v_add_f64 v[142:143], v[142:143], v[146:147]
	v_add_f64 v[4:5], v[4:5], v[8:9]
	v_fma_f64 v[8:9], s[20:21], v[86:87], v[16:17]
	v_add_f64 v[10:11], v[10:11], v[22:23]
	v_mul_f64 v[22:23], v[122:123], s[30:31]
	v_fma_f64 v[30:31], s[22:23], v[110:111], v[26:27]
	v_add_f64 v[138:139], v[138:139], v[142:143]
	v_add_f64 v[10:11], v[8:9], v[10:11]
	v_fma_f64 v[8:9], s[10:11], v[108:109], v[22:23]
	v_add_f64 v[30:31], v[30:31], v[138:139]
	v_fmac_f64_e32 v[134:135], s[34:35], v[96:97]
	v_add_f64 v[8:9], v[8:9], v[30:31]
	v_fmac_f64_e32 v[28:29], s[38:39], v[94:95]
	v_add_f64 v[30:31], v[14:15], v[134:135]
	v_fmac_f64_e32 v[24:25], s[16:17], v[92:93]
	v_add_f64 v[28:29], v[28:29], v[30:31]
	v_fmac_f64_e32 v[20:21], s[36:37], v[90:91]
	v_add_f64 v[24:25], v[24:25], v[28:29]
	v_fmac_f64_e32 v[18:19], s[44:45], v[88:89]
	v_add_f64 v[20:21], v[20:21], v[24:25]
	v_fma_f64 v[28:29], v[120:121], s[18:19], -v[148:149]
	v_mul_f64 v[142:143], v[116:117], s[10:11]
	v_add_f64 v[18:19], v[18:19], v[20:21]
	v_fma_f64 v[20:21], v[110:111], s[22:23], -v[26:27]
	v_fma_f64 v[26:27], v[118:119], s[8:9], -v[144:145]
	v_add_f64 v[28:29], v[12:13], v[28:29]
	v_mul_f64 v[138:139], v[106:107], s[18:19]
	v_fma_f64 v[144:145], s[20:21], v[96:97], v[142:143]
	v_mul_f64 v[156:157], v[132:133], s[30:31]
	v_fmac_f64_e32 v[16:17], s[30:31], v[86:87]
	v_fma_f64 v[24:25], v[114:115], s[14:15], -v[140:141]
	v_add_f64 v[26:27], v[26:27], v[28:29]
	v_mul_f64 v[134:135], v[104:105], s[22:23]
	v_fma_f64 v[140:141], s[34:35], v[94:95], v[138:139]
	v_add_f64 v[144:145], v[14:15], v[144:145]
	v_mul_f64 v[152:153], v[130:131], s[24:25]
	v_fma_f64 v[158:159], s[10:11], v[120:121], v[156:157]
	v_add_f64 v[18:19], v[16:17], v[18:19]
	v_fma_f64 v[16:17], v[108:109], s[10:11], -v[22:23]
	v_fma_f64 v[22:23], v[112:113], s[28:29], -v[136:137]
	v_add_f64 v[24:25], v[24:25], v[26:27]
	v_mul_f64 v[28:29], v[102:103], s[8:9]
	v_fma_f64 v[136:137], s[26:27], v[92:93], v[134:135]
	v_add_f64 v[140:141], v[140:141], v[144:145]
	v_mul_f64 v[148:149], v[128:129], s[44:45]
	v_fma_f64 v[154:155], s[18:19], v[118:119], v[152:153]
	v_add_f64 v[158:159], v[12:13], v[158:159]
	v_add_f64 v[22:23], v[22:23], v[24:25]
	v_mul_f64 v[26:27], v[100:101], s[28:29]
	v_fma_f64 v[30:31], s[38:39], v[90:91], v[28:29]
	v_add_f64 v[136:137], v[136:137], v[140:141]
	v_mul_f64 v[144:145], v[126:127], s[12:13]
	v_fma_f64 v[150:151], s[22:23], v[114:115], v[148:149]
	v_add_f64 v[154:155], v[154:155], v[158:159]
	v_add_f64 v[20:21], v[20:21], v[22:23]
	v_mul_f64 v[24:25], v[98:99], s[14:15]
	v_fma_f64 v[22:23], s[40:41], v[88:89], v[26:27]
	v_add_f64 v[30:31], v[30:31], v[136:137]
	v_mul_f64 v[136:137], v[124:125], s[36:37]
	v_fma_f64 v[146:147], s[8:9], v[112:113], v[144:145]
	v_add_f64 v[150:151], v[150:151], v[154:155]
	v_add_f64 v[16:17], v[16:17], v[20:21]
	v_fma_f64 v[20:21], s[16:17], v[86:87], v[24:25]
	v_add_f64 v[22:23], v[22:23], v[30:31]
	v_mul_f64 v[30:31], v[122:123], s[42:43]
	v_fma_f64 v[140:141], s[28:29], v[110:111], v[136:137]
	v_add_f64 v[146:147], v[146:147], v[150:151]
	v_add_f64 v[22:23], v[20:21], v[22:23]
	v_fma_f64 v[20:21], s[14:15], v[108:109], v[30:31]
	v_add_f64 v[140:141], v[140:141], v[146:147]
	v_fmac_f64_e32 v[142:143], s[30:31], v[96:97]
	v_add_f64 v[20:21], v[20:21], v[140:141]
	v_fmac_f64_e32 v[138:139], s[24:25], v[94:95]
	v_add_f64 v[140:141], v[14:15], v[142:143]
	v_fmac_f64_e32 v[134:135], s[44:45], v[92:93]
	v_add_f64 v[138:139], v[138:139], v[140:141]
	v_fmac_f64_e32 v[28:29], s[12:13], v[90:91]
	v_add_f64 v[134:135], v[134:135], v[138:139]
	v_fmac_f64_e32 v[26:27], s[36:37], v[88:89]
	v_add_f64 v[28:29], v[28:29], v[134:135]
	v_fma_f64 v[138:139], v[120:121], s[10:11], -v[156:157]
	v_mul_f64 v[150:151], v[116:117], s[8:9]
	v_add_f64 v[26:27], v[26:27], v[28:29]
	v_fma_f64 v[28:29], v[110:111], s[28:29], -v[136:137]
	v_fma_f64 v[136:137], v[118:119], s[18:19], -v[152:153]
	v_add_f64 v[138:139], v[12:13], v[138:139]
	v_mul_f64 v[146:147], v[106:107], s[28:29]
	v_fma_f64 v[152:153], s[38:39], v[96:97], v[150:151]
	v_mul_f64 v[164:165], v[132:133], s[12:13]
	v_fmac_f64_e32 v[24:25], s[42:43], v[86:87]
	v_fma_f64 v[134:135], v[114:115], s[22:23], -v[148:149]
	v_add_f64 v[136:137], v[136:137], v[138:139]
	v_mul_f64 v[142:143], v[104:105], s[10:11]
	v_fma_f64 v[148:149], s[36:37], v[94:95], v[146:147]
	v_add_f64 v[152:153], v[14:15], v[152:153]
	v_mul_f64 v[160:161], v[130:131], s[40:41]
	v_fma_f64 v[166:167], s[8:9], v[120:121], v[164:165]
	v_add_f64 v[26:27], v[24:25], v[26:27]
	v_fma_f64 v[24:25], v[108:109], s[14:15], -v[30:31]
	v_fma_f64 v[30:31], v[112:113], s[8:9], -v[144:145]
	v_add_f64 v[134:135], v[134:135], v[136:137]
	v_mul_f64 v[138:139], v[102:103], s[22:23]
	v_fma_f64 v[144:145], s[30:31], v[92:93], v[142:143]
	v_add_f64 v[148:149], v[148:149], v[152:153]
	v_mul_f64 v[156:157], v[128:129], s[20:21]
	v_fma_f64 v[162:163], s[28:29], v[118:119], v[160:161]
	v_add_f64 v[166:167], v[12:13], v[166:167]
	v_add_f64 v[30:31], v[30:31], v[134:135]
	v_mul_f64 v[136:137], v[100:101], s[14:15]
	v_fma_f64 v[140:141], s[26:27], v[90:91], v[138:139]
	v_add_f64 v[144:145], v[144:145], v[148:149]
	v_mul_f64 v[152:153], v[126:127], s[44:45]
	v_fma_f64 v[158:159], s[10:11], v[114:115], v[156:157]
	v_add_f64 v[162:163], v[162:163], v[166:167]
	;; [unrolled: 60-line block ×3, first 2 shown]
	v_add_f64 v[138:139], v[138:139], v[140:141]
	v_mul_f64 v[142:143], v[98:99], s[22:23]
	v_fma_f64 v[140:141], s[12:13], v[88:89], v[144:145]
	v_add_f64 v[148:149], v[148:149], v[152:153]
	v_mul_f64 v[152:153], v[124:125], s[38:39]
	v_fma_f64 v[162:163], s[18:19], v[112:113], v[160:161]
	v_add_f64 v[166:167], v[166:167], v[170:171]
	v_add_f64 v[134:135], v[134:135], v[138:139]
	v_fma_f64 v[138:139], s[26:27], v[86:87], v[142:143]
	v_add_f64 v[140:141], v[140:141], v[148:149]
	v_mul_f64 v[148:149], v[122:123], s[44:45]
	v_fma_f64 v[156:157], s[8:9], v[110:111], v[152:153]
	v_add_f64 v[162:163], v[162:163], v[166:167]
	v_add_f64 v[140:141], v[138:139], v[140:141]
	v_fma_f64 v[138:139], s[22:23], v[108:109], v[148:149]
	v_add_f64 v[156:157], v[156:157], v[162:163]
	v_fmac_f64_e32 v[158:159], s[16:17], v[96:97]
	v_add_f64 v[138:139], v[138:139], v[156:157]
	v_fmac_f64_e32 v[154:155], s[30:31], v[94:95]
	;; [unrolled: 2-line block ×5, first 2 shown]
	v_add_f64 v[146:147], v[146:147], v[150:151]
	v_fma_f64 v[154:155], v[120:121], s[14:15], -v[172:173]
	v_add_f64 v[144:145], v[144:145], v[146:147]
	v_fma_f64 v[146:147], v[110:111], s[8:9], -v[152:153]
	v_fma_f64 v[152:153], v[118:119], s[10:11], -v[168:169]
	v_add_f64 v[154:155], v[12:13], v[154:155]
	v_fmac_f64_e32 v[142:143], s[44:45], v[86:87]
	v_fma_f64 v[150:151], v[114:115], s[28:29], -v[164:165]
	v_add_f64 v[152:153], v[152:153], v[154:155]
	v_add_f64 v[144:145], v[142:143], v[144:145]
	v_fma_f64 v[142:143], v[108:109], s[22:23], -v[148:149]
	v_fma_f64 v[148:149], v[112:113], s[18:19], -v[160:161]
	v_add_f64 v[150:151], v[150:151], v[152:153]
	v_add_f64 v[148:149], v[148:149], v[150:151]
	;; [unrolled: 1-line block ×3, first 2 shown]
	v_mul_f64 v[116:117], v[116:117], s[22:23]
	v_add_f64 v[142:143], v[142:143], v[146:147]
	v_mul_f64 v[146:147], v[98:99], s[28:29]
	v_mul_f64 v[106:107], v[106:107], s[14:15]
	v_fma_f64 v[156:157], s[44:45], v[96:97], v[116:117]
	v_fmac_f64_e32 v[116:117], s[26:27], v[96:97]
	v_fma_f64 v[98:99], s[36:37], v[86:87], v[146:147]
	v_mul_f64 v[104:105], v[104:105], s[8:9]
	v_fma_f64 v[154:155], s[42:43], v[94:95], v[106:107]
	v_fmac_f64_e32 v[146:147], s[40:41], v[86:87]
	v_fmac_f64_e32 v[106:107], s[16:17], v[94:95]
	v_add_f64 v[86:87], v[14:15], v[116:117]
	v_mul_f64 v[102:103], v[102:103], s[10:11]
	v_fma_f64 v[152:153], s[38:39], v[92:93], v[104:105]
	v_fmac_f64_e32 v[104:105], s[12:13], v[92:93]
	v_add_f64 v[86:87], v[106:107], v[86:87]
	v_fma_f64 v[150:151], s[20:21], v[90:91], v[102:103]
	v_mul_f64 v[132:133], v[132:133], s[26:27]
	v_fmac_f64_e32 v[102:103], s[30:31], v[90:91]
	v_add_f64 v[86:87], v[104:105], v[86:87]
	v_fma_f64 v[158:159], s[22:23], v[120:121], v[132:133]
	v_add_f64 v[86:87], v[102:103], v[86:87]
	v_fma_f64 v[102:103], v[120:121], s[22:23], -v[132:133]
	v_add_f64 v[156:157], v[14:15], v[156:157]
	v_add_f64 v[158:159], v[12:13], v[158:159]
	;; [unrolled: 1-line block ×15, first 2 shown]
	v_mul_f64 v[130:131], v[130:131], s[16:17]
	v_add_f64 v[14:15], v[14:15], v[54:55]
	v_add_f64 v[12:13], v[12:13], v[38:39]
	;; [unrolled: 1-line block ×3, first 2 shown]
	v_mul_f64 v[128:129], v[128:129], s[12:13]
	v_fma_f64 v[156:157], s[14:15], v[118:119], v[130:131]
	v_fma_f64 v[96:97], v[118:119], s[14:15], -v[130:131]
	v_add_f64 v[14:15], v[14:15], v[56:57]
	v_add_f64 v[12:13], v[12:13], v[32:33]
	v_mul_f64 v[148:149], v[100:101], s[18:19]
	v_add_f64 v[152:153], v[152:153], v[154:155]
	v_mul_f64 v[126:127], v[126:127], s[30:31]
	v_fma_f64 v[154:155], s[8:9], v[114:115], v[128:129]
	v_add_f64 v[156:157], v[156:157], v[158:159]
	v_fma_f64 v[94:95], v[114:115], s[8:9], -v[128:129]
	v_add_f64 v[96:97], v[96:97], v[102:103]
	v_add_f64 v[14:15], v[14:15], v[60:61]
	;; [unrolled: 1-line block ×3, first 2 shown]
	v_fma_f64 v[100:101], s[24:25], v[88:89], v[148:149]
	v_add_f64 v[150:151], v[150:151], v[152:153]
	v_mul_f64 v[124:125], v[124:125], s[34:35]
	v_fma_f64 v[152:153], s[10:11], v[112:113], v[126:127]
	v_add_f64 v[154:155], v[154:155], v[156:157]
	v_fmac_f64_e32 v[148:149], s[34:35], v[88:89]
	v_fma_f64 v[92:93], v[112:113], s[10:11], -v[126:127]
	v_add_f64 v[94:95], v[94:95], v[96:97]
	v_add_f64 v[14:15], v[14:15], v[62:63]
	v_add_f64 v[12:13], v[12:13], v[42:43]
	v_add_f64 v[100:101], v[100:101], v[150:151]
	v_mul_f64 v[122:123], v[122:123], s[40:41]
	v_fma_f64 v[150:151], s[18:19], v[110:111], v[124:125]
	v_add_f64 v[152:153], v[152:153], v[154:155]
	v_add_f64 v[86:87], v[148:149], v[86:87]
	v_fma_f64 v[90:91], v[110:111], s[18:19], -v[124:125]
	v_add_f64 v[92:93], v[92:93], v[94:95]
	v_add_f64 v[14:15], v[14:15], v[66:67]
	;; [unrolled: 1-line block ×4, first 2 shown]
	v_fma_f64 v[98:99], s[28:29], v[108:109], v[122:123]
	v_add_f64 v[150:151], v[150:151], v[152:153]
	v_add_f64 v[88:89], v[146:147], v[86:87]
	v_fma_f64 v[86:87], v[108:109], s[28:29], -v[122:123]
	v_add_f64 v[90:91], v[90:91], v[92:93]
	v_add_f64 v[14:15], v[14:15], v[74:75]
	;; [unrolled: 1-line block ×5, first 2 shown]
	ds_write_b128 v230, v[12:15]
	ds_write_b128 v230, v[86:89] offset:2080
	ds_write_b128 v230, v[142:145] offset:4160
	;; [unrolled: 1-line block ×12, first 2 shown]
.LBB0_25:
	s_or_b64 exec, exec, s[4:5]
	s_waitcnt lgkmcnt(0)
	s_barrier
	s_and_saveexec_b64 s[4:5], s[0:1]
	s_cbranch_execz .LBB0_27
; %bb.26:
	v_mul_lo_u32 v0, s3, v82
	v_mul_lo_u32 v1, s2, v83
	v_mad_u64_u32 v[4:5], s[0:1], s2, v82, 0
	v_lshl_add_u32 v12, v84, 4, 0
	v_add3_u32 v5, v5, v1, v0
	ds_read_b128 v[0:3], v12
	v_lshl_add_u64 v[4:5], v[4:5], 4, s[6:7]
	v_lshl_add_u64 v[8:9], v[80:81], 4, v[4:5]
	ds_read_b128 v[4:7], v12 offset:2704
	v_mov_b32_e32 v85, 0
	v_lshl_add_u64 v[10:11], v[84:85], 4, v[8:9]
	s_waitcnt lgkmcnt(1)
	global_store_dwordx4 v[10:11], v[0:3], off
	s_nop 1
	v_add_u32_e32 v0, 0xa9, v84
	v_mov_b32_e32 v1, v85
	v_lshl_add_u64 v[0:1], v[0:1], 4, v[8:9]
	s_waitcnt lgkmcnt(0)
	global_store_dwordx4 v[0:1], v[4:7], off
	ds_read_b128 v[0:3], v12 offset:5408
	s_nop 0
	v_add_u32_e32 v4, 0x152, v84
	v_mov_b32_e32 v5, v85
	v_lshl_add_u64 v[10:11], v[4:5], 4, v[8:9]
	ds_read_b128 v[4:7], v12 offset:8112
	s_waitcnt lgkmcnt(1)
	global_store_dwordx4 v[10:11], v[0:3], off
	s_nop 1
	v_add_u32_e32 v0, 0x1fb, v84
	v_mov_b32_e32 v1, v85
	v_lshl_add_u64 v[0:1], v[0:1], 4, v[8:9]
	s_waitcnt lgkmcnt(0)
	global_store_dwordx4 v[0:1], v[4:7], off
	ds_read_b128 v[0:3], v12 offset:10816
	s_nop 0
	v_add_u32_e32 v4, 0x2a4, v84
	v_mov_b32_e32 v5, v85
	v_lshl_add_u64 v[10:11], v[4:5], 4, v[8:9]
	ds_read_b128 v[4:7], v12 offset:13520
	;; [unrolled: 14-line block ×3, first 2 shown]
	s_waitcnt lgkmcnt(1)
	global_store_dwordx4 v[10:11], v[0:3], off
	v_add_u32_e32 v10, 0x548, v84
	v_mov_b32_e32 v11, v85
	v_add_u32_e32 v0, 0x49f, v84
	v_mov_b32_e32 v1, v85
	v_lshl_add_u64 v[0:1], v[0:1], 4, v[8:9]
	s_waitcnt lgkmcnt(0)
	global_store_dwordx4 v[0:1], v[4:7], off
	ds_read_b128 v[0:3], v12 offset:21632
	ds_read_b128 v[4:7], v12 offset:24336
	v_lshl_add_u64 v[10:11], v[10:11], 4, v[8:9]
	v_add_u32_e32 v84, 0x5f1, v84
	s_waitcnt lgkmcnt(1)
	global_store_dwordx4 v[10:11], v[0:3], off
	s_nop 1
	v_lshl_add_u64 v[0:1], v[84:85], 4, v[8:9]
	s_waitcnt lgkmcnt(0)
	global_store_dwordx4 v[0:1], v[4:7], off
.LBB0_27:
	s_endpgm
	.section	.rodata,"a",@progbits
	.p2align	6, 0x0
	.amdhsa_kernel fft_rtc_fwd_len1690_factors_13_10_13_wgs_169_tpt_169_dp_op_CI_CI_unitstride_sbrr_C2R_dirReg
		.amdhsa_group_segment_fixed_size 0
		.amdhsa_private_segment_fixed_size 0
		.amdhsa_kernarg_size 104
		.amdhsa_user_sgpr_count 2
		.amdhsa_user_sgpr_dispatch_ptr 0
		.amdhsa_user_sgpr_queue_ptr 0
		.amdhsa_user_sgpr_kernarg_segment_ptr 1
		.amdhsa_user_sgpr_dispatch_id 0
		.amdhsa_user_sgpr_kernarg_preload_length 0
		.amdhsa_user_sgpr_kernarg_preload_offset 0
		.amdhsa_user_sgpr_private_segment_size 0
		.amdhsa_uses_dynamic_stack 0
		.amdhsa_enable_private_segment 0
		.amdhsa_system_sgpr_workgroup_id_x 1
		.amdhsa_system_sgpr_workgroup_id_y 0
		.amdhsa_system_sgpr_workgroup_id_z 0
		.amdhsa_system_sgpr_workgroup_info 0
		.amdhsa_system_vgpr_workitem_id 0
		.amdhsa_next_free_vgpr 258
		.amdhsa_next_free_sgpr 48
		.amdhsa_accum_offset 256
		.amdhsa_reserve_vcc 1
		.amdhsa_float_round_mode_32 0
		.amdhsa_float_round_mode_16_64 0
		.amdhsa_float_denorm_mode_32 3
		.amdhsa_float_denorm_mode_16_64 3
		.amdhsa_dx10_clamp 1
		.amdhsa_ieee_mode 1
		.amdhsa_fp16_overflow 0
		.amdhsa_tg_split 0
		.amdhsa_exception_fp_ieee_invalid_op 0
		.amdhsa_exception_fp_denorm_src 0
		.amdhsa_exception_fp_ieee_div_zero 0
		.amdhsa_exception_fp_ieee_overflow 0
		.amdhsa_exception_fp_ieee_underflow 0
		.amdhsa_exception_fp_ieee_inexact 0
		.amdhsa_exception_int_div_zero 0
	.end_amdhsa_kernel
	.text
.Lfunc_end0:
	.size	fft_rtc_fwd_len1690_factors_13_10_13_wgs_169_tpt_169_dp_op_CI_CI_unitstride_sbrr_C2R_dirReg, .Lfunc_end0-fft_rtc_fwd_len1690_factors_13_10_13_wgs_169_tpt_169_dp_op_CI_CI_unitstride_sbrr_C2R_dirReg
                                        ; -- End function
	.section	.AMDGPU.csdata,"",@progbits
; Kernel info:
; codeLenInByte = 12880
; NumSgprs: 54
; NumVgprs: 256
; NumAgprs: 2
; TotalNumVgprs: 258
; ScratchSize: 0
; MemoryBound: 0
; FloatMode: 240
; IeeeMode: 1
; LDSByteSize: 0 bytes/workgroup (compile time only)
; SGPRBlocks: 6
; VGPRBlocks: 32
; NumSGPRsForWavesPerEU: 54
; NumVGPRsForWavesPerEU: 258
; AccumOffset: 256
; Occupancy: 1
; WaveLimiterHint : 1
; COMPUTE_PGM_RSRC2:SCRATCH_EN: 0
; COMPUTE_PGM_RSRC2:USER_SGPR: 2
; COMPUTE_PGM_RSRC2:TRAP_HANDLER: 0
; COMPUTE_PGM_RSRC2:TGID_X_EN: 1
; COMPUTE_PGM_RSRC2:TGID_Y_EN: 0
; COMPUTE_PGM_RSRC2:TGID_Z_EN: 0
; COMPUTE_PGM_RSRC2:TIDIG_COMP_CNT: 0
; COMPUTE_PGM_RSRC3_GFX90A:ACCUM_OFFSET: 63
; COMPUTE_PGM_RSRC3_GFX90A:TG_SPLIT: 0
	.text
	.p2alignl 6, 3212836864
	.fill 256, 4, 3212836864
	.type	__hip_cuid_faae2f485a690a9b,@object ; @__hip_cuid_faae2f485a690a9b
	.section	.bss,"aw",@nobits
	.globl	__hip_cuid_faae2f485a690a9b
__hip_cuid_faae2f485a690a9b:
	.byte	0                               ; 0x0
	.size	__hip_cuid_faae2f485a690a9b, 1

	.ident	"AMD clang version 19.0.0git (https://github.com/RadeonOpenCompute/llvm-project roc-6.4.0 25133 c7fe45cf4b819c5991fe208aaa96edf142730f1d)"
	.section	".note.GNU-stack","",@progbits
	.addrsig
	.addrsig_sym __hip_cuid_faae2f485a690a9b
	.amdgpu_metadata
---
amdhsa.kernels:
  - .agpr_count:     2
    .args:
      - .actual_access:  read_only
        .address_space:  global
        .offset:         0
        .size:           8
        .value_kind:     global_buffer
      - .offset:         8
        .size:           8
        .value_kind:     by_value
      - .actual_access:  read_only
        .address_space:  global
        .offset:         16
        .size:           8
        .value_kind:     global_buffer
      - .actual_access:  read_only
        .address_space:  global
        .offset:         24
        .size:           8
        .value_kind:     global_buffer
      - .actual_access:  read_only
        .address_space:  global
        .offset:         32
        .size:           8
        .value_kind:     global_buffer
      - .offset:         40
        .size:           8
        .value_kind:     by_value
      - .actual_access:  read_only
        .address_space:  global
        .offset:         48
        .size:           8
        .value_kind:     global_buffer
      - .actual_access:  read_only
        .address_space:  global
        .offset:         56
        .size:           8
        .value_kind:     global_buffer
      - .offset:         64
        .size:           4
        .value_kind:     by_value
      - .actual_access:  read_only
        .address_space:  global
        .offset:         72
        .size:           8
        .value_kind:     global_buffer
      - .actual_access:  read_only
        .address_space:  global
        .offset:         80
        .size:           8
        .value_kind:     global_buffer
      - .actual_access:  read_only
        .address_space:  global
        .offset:         88
        .size:           8
        .value_kind:     global_buffer
      - .actual_access:  write_only
        .address_space:  global
        .offset:         96
        .size:           8
        .value_kind:     global_buffer
    .group_segment_fixed_size: 0
    .kernarg_segment_align: 8
    .kernarg_segment_size: 104
    .language:       OpenCL C
    .language_version:
      - 2
      - 0
    .max_flat_workgroup_size: 169
    .name:           fft_rtc_fwd_len1690_factors_13_10_13_wgs_169_tpt_169_dp_op_CI_CI_unitstride_sbrr_C2R_dirReg
    .private_segment_fixed_size: 0
    .sgpr_count:     54
    .sgpr_spill_count: 0
    .symbol:         fft_rtc_fwd_len1690_factors_13_10_13_wgs_169_tpt_169_dp_op_CI_CI_unitstride_sbrr_C2R_dirReg.kd
    .uniform_work_group_size: 1
    .uses_dynamic_stack: false
    .vgpr_count:     258
    .vgpr_spill_count: 0
    .wavefront_size: 64
amdhsa.target:   amdgcn-amd-amdhsa--gfx950
amdhsa.version:
  - 1
  - 2
...

	.end_amdgpu_metadata
